;; amdgpu-corpus repo=ROCm/aiter kind=harvested arch=n/a opt=n/a

/root/src/amdgpu-assembly/repos/ROCm__aiter/hsa/gfx942/pa/pa_fp16_pertokenFp8_gqa8_2tg_4w.co:	file format elf64-amdgpu

Disassembly of section .text:

0000000000002100 <_ZN5aiter31pa_fp16_pertokenFp8_gqa8_2tg_4wE>:
	s_and_b32 s1, s1, 0xffff                                   // 000000002100: 8601FF01 0000FFFF
	s_load_dwordx2 s[8:9], s[0:1], 0x0                         // 000000002108: C0060200 00000000
	s_load_dwordx2 s[12:13], s[0:1], 0x10                      // 000000002110: C0060300 00000010
	s_load_dwordx2 s[16:17], s[0:1], 0x20                      // 000000002118: C0060400 00000020
	s_load_dwordx2 s[20:21], s[0:1], 0x30                      // 000000002120: C0060500 00000030
	s_load_dwordx2 s[24:25], s[0:1], 0x40                      // 000000002128: C0060600 00000040
	s_load_dwordx2 s[28:29], s[0:1], 0x50                      // 000000002130: C0060700 00000050
	s_load_dwordx2 s[32:33], s[0:1], 0x60                      // 000000002138: C0060800 00000060
	s_load_dwordx2 s[36:37], s[0:1], 0x70                      // 000000002140: C0060900 00000070
	s_load_dword s64, s[0:1], 0x80                             // 000000002148: C0021000 00000080
	s_load_dword s65, s[0:1], 0x90                             // 000000002150: C0021040 00000090
	s_load_dword s66, s[0:1], 0xa0                             // 000000002158: C0021080 000000A0
	s_load_dword s74, s[0:1], 0xb0                             // 000000002160: C0021280 000000B0
	s_load_dword s68, s[0:1], 0xc0                             // 000000002168: C0021100 000000C0
	s_load_dword s69, s[0:1], 0xd0                             // 000000002170: C0021140 000000D0
	s_load_dword s77, s[0:1], 0xe0                             // 000000002178: C0021340 000000E0
	v_lshrrev_b32_e32 v1, 10, v0                               // 000000002180: 2002008A
	v_lshrrev_b32_e32 v2, 10, v1                               // 000000002184: 2004028A
	v_and_b32_e32 v2, 0x3ff, v2                                // 000000002188: 260404FF 000003FF
	v_and_b32_e32 v1, 0x3ff, v1                                // 000000002190: 260202FF 000003FF
	v_and_b32_e32 v0, 0x3ff, v0                                // 000000002198: 260000FF 000003FF
	v_lshrrev_b32_e32 v3, 6, v0                                // 0000000021A0: 20060086
	v_and_b32_e32 v0, 63, v0                                   // 0000000021A4: 260000BF
	s_mov_b32 s2, s2                                           // 0000000021A8: BE820002
	s_mov_b32 s3, s3                                           // 0000000021AC: BE830003
	s_mov_b32 s4, s4                                           // 0000000021B0: BE840004
	v_readfirstlane_b32 s7, v3                                 // 0000000021B4: 7E0E0503
	s_waitcnt lgkmcnt(0)                                       // 0000000021B8: BF8CC07F
	s_mul_i32 s67, 0x100, s77                                  // 0000000021BC: 92434DFF 00000100
	s_mul_i32 s76, 0x100, s77                                  // 0000000021C4: 924C4DFF 00000100
	s_mul_i32 s75, s66, s76                                    // 0000000021CC: 924B4C42
	s_mul_i32 s60, s3, 4                                       // 0000000021D0: 923C8403
	s_and_b32 s29, s29, 0xffff                                 // 0000000021D4: 861DFF1D 0000FFFF
	s_add_u32 s28, s60, s28                                    // 0000000021DC: 801C1C3C
	s_addc_u32 s29, 0, s29                                     // 0000000021E0: 821D1D80
	s_load_dword s72, s[28:29], 0x0                            // 0000000021E4: C002120E 00000000
	s_mov_b32 s10, s76                                         // 0000000021EC: BE8A004C
	s_mov_b32 s14, s67                                         // 0000000021F0: BE8E0043
	s_mul_i32 s60, 4, s65                                      // 0000000021F4: 923C4184
	s_mov_b32 s26, s60                                         // 0000000021F8: BE9A003C
	s_mov_b32 s34, 0x80000000                                  // 0000000021FC: BEA200FF 80000000
	s_mov_b32 s38, 0x80000000                                  // 000000002204: BEA600FF 80000000
	s_mov_b32 s18, 0x80000000                                  // 00000000220C: BE9200FF 80000000
	s_mov_b32 s22, 0x80000000                                  // 000000002214: BE9600FF 80000000
	s_mov_b32 s11, 0x20000                                     // 00000000221C: BE8B00FF 00020000
	s_mov_b32 s15, 0x20000                                     // 000000002224: BE8F00FF 00020000
	s_mov_b32 s19, 0x20000                                     // 00000000222C: BE9300FF 00020000
	s_mov_b32 s23, 0x20000                                     // 000000002234: BE9700FF 00020000
	s_mov_b32 s27, 0x20000                                     // 00000000223C: BE9B00FF 00020000
	s_mov_b32 s35, 0x20000                                     // 000000002244: BEA300FF 00020000
	s_mov_b32 s39, 0x20000                                     // 00000000224C: BEA700FF 00020000
	s_and_b32 s9, s9, 0xffff                                   // 000000002254: 8609FF09 0000FFFF
	s_and_b32 s13, s13, 0xffff                                 // 00000000225C: 860DFF0D 0000FFFF
	s_and_b32 s17, s17, 0xffff                                 // 000000002264: 8611FF11 0000FFFF
	s_and_b32 s21, s21, 0xffff                                 // 00000000226C: 8615FF15 0000FFFF
	s_and_b32 s25, s25, 0xffff                                 // 000000002274: 8619FF19 0000FFFF
	s_and_b32 s33, s33, 0xffff                                 // 00000000227C: 8621FF21 0000FFFF
	s_and_b32 s37, s37, 0xffff                                 // 000000002284: 8625FF25 0000FFFF
	s_or_b32 s9, s9, 0x40000                                   // 00000000228C: 8709FF09 00040000
	s_or_b32 s13, s13, 0x40000                                 // 000000002294: 870DFF0D 00040000
	s_or_b32 s17, s17, 0x40000                                 // 00000000229C: 8711FF11 00040000
	s_or_b32 s21, s21, 0x40000                                 // 0000000022A4: 8715FF15 00040000
	s_or_b32 s25, s25, 0x40000                                 // 0000000022AC: 8719FF19 00040000
	s_or_b32 s33, s33, 0x40000                                 // 0000000022B4: 8721FF21 00040000
	s_or_b32 s37, s37, 0x40000                                 // 0000000022BC: 8725FF25 00040000
	v_accvgpr_write_b32 a127, 0                                // 0000000022C4: D3D9407F 18000080
	v_mov_b32_e32 v127, 0                                      // 0000000022CC: 7EFE0280
	s_mul_i32 s60, s3, s65                                     // 0000000022D0: 923C4103
	s_mul_i32 s60, s60, 4                                      // 0000000022D4: 923C843C
	s_add_u32 s24, s60, s24                                    // 0000000022D8: 8018183C
	s_addc_u32 s25, 0, s25                                     // 0000000022DC: 82191980
	s_mov_b32 s56, 64                                          // 0000000022E0: BEB800C0
	s_waitcnt lgkmcnt(0)                                       // 0000000022E4: BF8CC07F
	s_add_u32 s73, s72, 15                                     // 0000000022E8: 80498F48
	s_lshr_b32 s73, s73, 4                                     // 0000000022EC: 8F498449
	s_mul_i32 s60, s73, 4                                      // 0000000022F0: 923C8449
	s_mov_b32 s26, s60                                         // 0000000022F4: BE9A003C
	v_and_b32_e32 v39, 3, v0                                   // 0000000022F8: 264E0083
	v_cmp_eq_u32_e64 s[60:61], 0, v39                          // 0000000022FC: D0CA003C 00024E80
	v_and_b32_e32 v38, 12, v0                                  // 000000002304: 264C008C
	v_add_u32_e32 v1, s7, v38                                  // 000000002308: 68024C07
	v_cndmask_b32_e64 v1, 0, v1, s[60:61]                      // 00000000230C: D1000001 00F20280
	v_and_b32_e32 v39, 3, v0                                   // 000000002314: 264E0083
	v_cmp_eq_u32_e64 s[60:61], 1, v39                          // 000000002318: D0CA003C 00024E81
	v_lshrrev_b32_e32 v38, 4, v0                               // 000000002320: 204C0084
	v_and_b32_e32 v39, 12, v0                                  // 000000002324: 264E008C
	v_add_u32_e32 v38, v39, v38                                // 000000002328: 684C4D27
	v_cndmask_b32_e64 v38, 0, v38, s[60:61]                    // 00000000232C: D1000026 00F24C80
	v_add_u32_e32 v1, v1, v38                                  // 000000002334: 68024D01
	v_lshlrev_b32_e32 v1, 2, v1                                // 000000002338: 24020282
	buffer_load_dword v16, v1, s[24:27], 0 offen               // 00000000233C: E0501000 80061001
	v_add_u32_e32 v1, s56, v1                                  // 000000002344: 68020238
	buffer_load_dword v17, v1, s[24:27], 0 offen               // 000000002348: E0501000 80061101
	s_cmp_le_u32 s73, 32                                       // 000000002350: BF0BA049
	s_cselect_b32 s56, 0, s56                                  // 000000002354: 85383880
	s_mul_i32 s60, s2, s67                                     // 000000002358: 923C4302
	s_mul_i32 s61, s3, s74                                     // 00000000235C: 923D4A03
	s_add_u32 s60, s60, s61                                    // 000000002360: 803C3D3C
	s_add_u32 s12, s60, s12                                    // 000000002364: 800C0C3C
	s_addc_u32 s13, 0, s13                                     // 000000002368: 820D0D80
	s_mul_i32 s60, s7, 0x108                                   // 00000000236C: 923CFF07 00000108
	s_add_u32 m0, 0, s60                                       // 000000002374: 807C3C80
	s_mul_i32 s60, s7, 0x100                                   // 000000002378: 923CFF07 00000100
	v_lshlrev_b32_e32 v38, 2, v0                               // 000000002380: 244C0082
	v_add_u32_e64 v38, v38, s60                                // 000000002384: D1340026 00007926
	buffer_load_dword v38, s[12:15], 0 offen lds               // 00000000238C: E0511000 80030026
	s_mul_i32 s60, 4, 0x108                                    // 000000002394: 923CFF84 00000108
	s_add_u32 m0, m0, s60                                      // 00000000239C: 807C3C7C
	v_add_u32_e32 v38, 0x400, v38                              // 0000000023A0: 684C4CFF 00000400
	buffer_load_dword v38, s[12:15], 0 offen lds               // 0000000023A8: E0511000 80030026
	s_mul_i32 s60, 4, 0x108                                    // 0000000023B0: 923CFF84 00000108
	s_add_u32 m0, m0, s60                                      // 0000000023B8: 807C3C7C
	v_add_u32_e32 v38, 0x400, v38                              // 0000000023BC: 684C4CFF 00000400
	s_mul_i32 s60, s7, 0x108                                   // 0000000023C4: 923CFF07 00000108
	v_lshlrev_b32_e32 v38, 2, v0                               // 0000000023CC: 244C0082
	v_add_u32_e64 v38, v38, s60                                // 0000000023D0: D1340026 00007926
	v_mov_b32_e32 v39, 0                                       // 0000000023D8: 7E4E0280
	ds_write_b32 v38, v39 offset:2112                          // 0000000023DC: D81A0840 00002726
	ds_write_b32 v38, v39 offset:3168                          // 0000000023E4: D81A0C60 00002726
	v_lshrrev_b32_e32 v38, 4, v0                               // 0000000023EC: 204C0084
	v_lshlrev_b32_e32 v38, 2, v38                              // 0000000023F0: 244C4C82
	v_and_b32_e32 v39, 3, v0                                   // 0000000023F4: 264E0083
	v_add_u32_e32 v38, v39, v38                                // 0000000023F8: 684C4D27
	v_lshlrev_b32_e32 v57, 2, v38                              // 0000000023FC: 24724C82
	v_mov_b32_e32 v58, v57                                     // 000000002400: 7E740339
	s_mul_i32 s60, s2, 64                                      // 000000002404: 923CC002
	s_add_u32 s32, s60, s32                                    // 000000002408: 8020203C
	s_addc_u32 s33, 0, s33                                     // 00000000240C: 82212180
	s_add_u32 s36, s60, s36                                    // 000000002410: 8024243C
	s_addc_u32 s37, 0, s37                                     // 000000002414: 82252580
	s_mul_i32 s60, s2, s76                                     // 000000002418: 923C4C02
	s_mul_i32 s61, s3, s75                                     // 00000000241C: 923D4B03
	s_add_u32 s60, s60, s61                                    // 000000002420: 803C3D3C
	s_add_u32 s8, s60, s8                                      // 000000002424: 8008083C
	s_addc_u32 s9, 0, s9                                       // 000000002428: 82090980
	s_mul_i32 s60, s7, 0x100                                   // 00000000242C: 923CFF07 00000100
	v_lshlrev_b32_e32 v8, 2, v0                                // 000000002434: 24100082
	v_add_u32_e64 v8, v8, s60                                  // 000000002438: D1340008 00007908
	s_mov_b32 s70, 0                                           // 000000002440: BEC60080
	s_and_b32 s71, s72, 0xffffff00                             // 000000002444: 8647FF48 FFFFFF00
	s_mov_b32 s42, 0xff00ff00                                  // 00000000244C: BEAA00FF FF00FF00
	s_mov_b32 s43, 0xff00ff00                                  // 000000002454: BEAB00FF FF00FF00
	s_mov_b32 s44, 0xf0f0f0f0                                  // 00000000245C: BEAC00FF F0F0F0F0
	s_mov_b32 s45, 0xf0f0f0f0                                  // 000000002464: BEAD00FF F0F0F0F0
	v_mul_i32_i24_e64 v61, 64, s66                             // 00000000246C: D106003D 000084C0
	v_mov_b32_e32 v51, s68                                     // 000000002474: 7E660244
	v_mov_b32_e32 v9, -1                                       // 000000002478: 7E1202C1
	s_mov_b32 s52, 0x7060302                                   // 00000000247C: BEB400FF 07060302
	s_mov_b32 s53, 0x400                                       // 000000002484: BEB500FF 00000400
	s_mov_b32 s54, 0x40100                                     // 00000000248C: BEB600FF 00040100
	s_mov_b32 s55, 0x4020100                                   // 000000002494: BEB700FF 04020100
	v_mov_b32_dpp v9, v9 row_shl:8 row_mask:0xf bank_mask:0xf bound_ctrl:1// 00000000249C: 7E1202FA FF090809
	s_mov_b32 s6, 0x3fb8aa3b                                   // 0000000024A4: BE8600FF 3FB8AA3B
	v_mov_b32_e32 v14, 0xff800000                              // 0000000024AC: 7E1C02FF FF800000
	v_mov_b32_e32 v52, 0xff800000                              // 0000000024B4: 7E6802FF FF800000
	v_mov_b32_e32 v49, 0                                       // 0000000024BC: 7E620280
	v_mov_b32_e32 v42, 0                                       // 0000000024C0: 7E540280
	v_mov_b32_e32 v47, 0                                       // 0000000024C4: 7E5E0280
	v_mov_b32_e32 v19, 0xffff0000                              // 0000000024C8: 7E2602FF FFFF0000
	v_mov_b32_e32 v20, 0x7fff0000                              // 0000000024D0: 7E2802FF 7FFF0000
	v_mov_b32_e32 v21, 0x7fff                                  // 0000000024D8: 7E2A02FF 00007FFF
	v_add_u32_e32 v1, s56, v1                                  // 0000000024E0: 68020238
	v_and_b32_e32 v10, 15, v0                                  // 0000000024E4: 2614008F
	v_lshlrev_b32_e32 v10, 2, v10                              // 0000000024E8: 24141482
	v_lshlrev_b32_e32 v11, 2, v0                               // 0000000024EC: 24160082
	s_mul_i32 s60, 0x100, s7                                   // 0000000024F0: 923C07FF 00000100
	v_add_u32_e32 v11, s60, v11                                // 0000000024F8: 6816163C
	v_lshrrev_b32_e32 v38, 4, v0                               // 0000000024FC: 204C0084
	v_lshlrev_b32_e32 v39, 6, v38                              // 000000002500: 244E4C86
	v_and_b32_e32 v38, 15, v0                                  // 000000002504: 264C008F
	v_lshlrev_b32_e32 v38, 1, v38                              // 000000002508: 244C4C81
	v_add_u32_e32 v39, v38, v39                                // 00000000250C: 684E4F26
	v_lshlrev_b32_e32 v12, 2, v39                              // 000000002510: 24184E82
	v_lshrrev_b32_e32 v38, 5, v0                               // 000000002514: 204C0085
	v_lshlrev_b32_e32 v39, 5, v38                              // 000000002518: 244E4C85
	v_and_b32_e32 v38, 31, v0                                  // 00000000251C: 264C009F
	v_lshrrev_b32_e32 v40, 4, v38                              // 000000002520: 20504C84
	v_add_u32_e32 v39, v40, v39                                // 000000002524: 684E4F28
	v_and_b32_e32 v38, 15, v0                                  // 000000002528: 264C008F
	v_lshlrev_b32_e32 v38, 1, v38                              // 00000000252C: 244C4C81
	v_add_u32_e32 v39, v38, v39                                // 000000002530: 684E4F26
	v_lshlrev_b32_e32 v38, 2, v39                              // 000000002534: 244C4E82
	s_mul_i32 s60, 0x100, s7                                   // 000000002538: 923C07FF 00000100
	v_add_u32_e64 v13, v38, s60                                // 000000002540: D134000D 00007926
	v_lshlrev_b32_e32 v6, 4, v0                                // 000000002548: 240C0084
	s_mul_i32 s60, s2, s69                                     // 00000000254C: 923C4502
	s_add_u32 s16, s60, s16                                    // 000000002550: 8010103C
	s_addc_u32 s17, 0, s17                                     // 000000002554: 82111180
	v_and_b32_e32 v38, 15, v0                                  // 000000002558: 264C008F
	v_lshlrev_b32_e32 v7, 4, v38                               // 00000000255C: 240E4C84
	s_mul_i32 s61, s2, s69                                     // 000000002560: 923D4502
	s_mul_i32 s60, s7, 0x100                                   // 000000002564: 923CFF07 00000100
	s_add_u32 s60, s60, s61                                    // 00000000256C: 803C3D3C
	s_add_u32 s20, s60, s20                                    // 000000002570: 8014143C
	s_addc_u32 s21, 0, s21                                     // 000000002574: 82151580
	s_waitcnt vmcnt(2)                                         // 000000002578: BF8C0F72
	v_mul_u32_u24_dpp v38, v16, v51 row_newbcast:0 row_mask:0xf bank_mask:0xf// 00000000257C: 104C66FA FF015010
	v_mul_u32_u24_dpp v39, v16, v51 row_newbcast:4 row_mask:0xf bank_mask:0xf// 000000002584: 104E66FA FF015410
	v_mul_u32_u24_dpp v40, v16, v51 row_newbcast:8 row_mask:0xf bank_mask:0xf// 00000000258C: 105066FA FF015810
	v_mul_u32_u24_dpp v41, v16, v51 row_newbcast:12 row_mask:0xf bank_mask:0xf// 000000002594: 105266FA FF015C10
	v_add_u32_e32 v22, v38, v6                                 // 00000000259C: 682C0D26
	v_add_u32_e32 v23, v39, v6                                 // 0000000025A0: 682E0D27
	v_add_u32_e32 v24, v40, v6                                 // 0000000025A4: 68300D28
	v_add_u32_e32 v25, v41, v6                                 // 0000000025A8: 68320D29
	v_mul_u32_u24_dpp v38, v16, v51 row_newbcast:1 row_mask:0xf bank_mask:0xf// 0000000025AC: 104C66FA FF015110
	v_mul_u32_u24_dpp v39, v16, v51 row_newbcast:5 row_mask:0xf bank_mask:0xf// 0000000025B4: 104E66FA FF015510
	v_mul_u32_u24_dpp v40, v16, v51 row_newbcast:9 row_mask:0xf bank_mask:0xf// 0000000025BC: 105066FA FF015910
	v_mul_u32_u24_dpp v41, v16, v51 row_newbcast:13 row_mask:0xf bank_mask:0xf// 0000000025C4: 105266FA FF015D10
	v_add_u32_e32 v30, v38, v7                                 // 0000000025CC: 683C0F26
	v_add_u32_e32 v31, v39, v7                                 // 0000000025D0: 683E0F27
	v_add_u32_e32 v32, v40, v7                                 // 0000000025D4: 68400F28
	v_add_u32_e32 v33, v41, v7                                 // 0000000025D8: 68420F29
	v_mul_u32_u24_dpp v38, v16, v61 quad_perm:[0,0,0,0] row_mask:0xf bank_mask:0xf// 0000000025DC: 104C7AFA FF000010
	v_add_u32_e32 v2, v38, v57                                 // 0000000025E4: 68047326
	v_mul_u32_u24_dpp v38, v16, v61 quad_perm:[0,0,0,0] row_mask:0xf bank_mask:0xf// 0000000025E8: 104C7AFA FF000010
	v_add_u32_e32 v53, v38, v58                                // 0000000025F0: 686A7526
	buffer_load_dword v44, v2, s[32:35], 0 offen               // 0000000025F4: E0501000 80082C02
	buffer_load_dwordx4 a[0:3], v22, s[16:19], 0 offen         // 0000000025FC: E05C1000 80840016
	buffer_load_dwordx4 a[4:7], v22, s[16:19], 0 offen offset:1024// 000000002604: E05C1400 80840416
	buffer_load_dwordx4 a[8:11], v23, s[16:19], 0 offen        // 00000000260C: E05C1000 80840817
	buffer_load_dwordx4 a[12:15], v23, s[16:19], 0 offen offset:1024// 000000002614: E05C1400 80840C17
	buffer_load_dwordx4 a[16:19], v24, s[16:19], 0 offen       // 00000000261C: E05C1000 80841018
	buffer_load_dwordx4 a[20:23], v24, s[16:19], 0 offen offset:1024// 000000002624: E05C1400 80841418
	buffer_load_dwordx4 a[24:27], v25, s[16:19], 0 offen       // 00000000262C: E05C1000 80841819
	buffer_load_dwordx4 a[28:31], v25, s[16:19], 0 offen offset:1024// 000000002634: E05C1400 80841C19
	buffer_load_dword v55, v53, s[36:39], 0 offen              // 00000000263C: E0501000 80093735
	buffer_load_dwordx4 a[64:67], v30, s[20:23], 0 offen       // 000000002644: E05C1000 8085401E
	buffer_load_dwordx4 a[68:71], v31, s[20:23], 0 offen       // 00000000264C: E05C1000 8085441F
	buffer_load_dwordx4 a[72:75], v32, s[20:23], 0 offen       // 000000002654: E05C1000 80854820
	buffer_load_dwordx4 a[76:79], v33, s[20:23], 0 offen       // 00000000265C: E05C1000 80854C21
	buffer_load_dwordx4 a[80:83], v30, s[20:23], 0 offen offset:1024// 000000002664: E05C1400 8085501E
	buffer_load_dwordx4 a[84:87], v31, s[20:23], 0 offen offset:1024// 00000000266C: E05C1400 8085541F
	buffer_load_dwordx4 a[88:91], v32, s[20:23], 0 offen offset:1024// 000000002674: E05C1400 80855820
	buffer_load_dwordx4 a[92:95], v33, s[20:23], 0 offen offset:1024// 00000000267C: E05C1400 80855C21
	v_lshrrev_b32_e32 v38, 4, v0                               // 000000002684: 204C0084
	v_lshlrev_b32_e32 v39, 1, v38                              // 000000002688: 244E4C81
	v_and_b32_e32 v38, 15, v0                                  // 00000000268C: 264C008F
	v_mul_i32_i24_e32 v38, 0x42, v38                           // 000000002690: 0C4C4CFF 00000042
	v_add_u32_e32 v39, v38, v39                                // 000000002698: 684E4F26
	v_lshlrev_b32_e32 v4, 2, v39                               // 00000000269C: 24084E82
	s_mul_i32 s60, s7, 32                                      // 0000000026A0: 923CA007
	v_add_u32_e32 v4, s60, v4                                  // 0000000026A4: 6808083C
	s_waitcnt vmcnt(16) lgkmcnt(0)                             // 0000000026A8: BF8C4070
	s_barrier                                                  // 0000000026AC: BF8A0000
	ds_read_b64 v[80:81], v4                                   // 0000000026B0: D8EC0000 50000004
	ds_read_b64 v[84:85], v4 offset:128                        // 0000000026B8: D8EC0080 54000004
	s_waitcnt lgkmcnt(0)                                       // 0000000026C0: BF8CC07F
	v_and_b32_e32 v38, 0xffff, v80                             // 0000000026C4: 264CA0FF 0000FFFF
	v_lshrrev_b32_e32 v39, 16, v80                             // 0000000026CC: 204EA090
	v_and_b32_e32 v40, 0xffff, v81                             // 0000000026D0: 2650A2FF 0000FFFF
	v_lshrrev_b32_e32 v41, 16, v81                             // 0000000026D8: 2052A290
	v_cvt_f32_f16_e32 v80, v38                                 // 0000000026DC: 7EA01726
	v_cvt_f32_f16_e32 v81, v39                                 // 0000000026E0: 7EA21727
	v_cvt_f32_f16_e32 v82, v40                                 // 0000000026E4: 7EA41728
	v_cvt_f32_f16_e32 v83, v41                                 // 0000000026E8: 7EA61729
	v_and_b32_e32 v38, 0xffff, v84                             // 0000000026EC: 264CA8FF 0000FFFF
	v_lshrrev_b32_e32 v39, 16, v84                             // 0000000026F4: 204EA890
	v_and_b32_e32 v40, 0xffff, v85                             // 0000000026F8: 2650AAFF 0000FFFF
	v_lshrrev_b32_e32 v41, 16, v85                             // 000000002700: 2052AA90
	v_cvt_f32_f16_e32 v84, v38                                 // 000000002704: 7EA81726
	v_cvt_f32_f16_e32 v85, v39                                 // 000000002708: 7EAA1727
	v_cvt_f32_f16_e32 v86, v40                                 // 00000000270C: 7EAC1728
	v_cvt_f32_f16_e32 v87, v41                                 // 000000002710: 7EAE1729
	v_mov_b32_e32 v48, 0x358637bd                              // 000000002714: 7E6002FF 358637BD
	v_max3_f32 v48, |v80|, |v81|, v48                          // 00000000271C: D1D30330 04C2A350
	v_max3_f32 v48, |v82|, |v83|, v48                          // 000000002724: D1D30330 04C2A752
	v_max3_f32 v48, |v84|, |v85|, v48                          // 00000000272C: D1D30330 04C2AB54
	v_max3_f32 v48, |v86|, |v87|, v48                          // 000000002734: D1D30330 04C2AF56
	ds_write_b32 v11, v48 offset:4224                          // 00000000273C: D81A1080 0000300B
	s_waitcnt lgkmcnt(0)                                       // 000000002744: BF8CC07F
	s_barrier                                                  // 000000002748: BF8A0000
	ds_read_b32 v64, v10 offset:4224                           // 00000000274C: D86C1080 4000000A
	ds_read_b32 v65, v10 offset:4288                           // 000000002754: D86C10C0 4100000A
	ds_read_b32 v66, v10 offset:4352                           // 00000000275C: D86C1100 4200000A
	ds_read_b32 v67, v10 offset:4416                           // 000000002764: D86C1140 4300000A
	ds_read_b32 v68, v10 offset:4480                           // 00000000276C: D86C1180 4400000A
	ds_read_b32 v69, v10 offset:4544                           // 000000002774: D86C11C0 4500000A
	ds_read_b32 v70, v10 offset:4608                           // 00000000277C: D86C1200 4600000A
	ds_read_b32 v71, v10 offset:4672                           // 000000002784: D86C1240 4700000A
	ds_read_b32 v72, v10 offset:4736                           // 00000000278C: D86C1280 4800000A
	ds_read_b32 v73, v10 offset:4800                           // 000000002794: D86C12C0 4900000A
	ds_read_b32 v74, v10 offset:4864                           // 00000000279C: D86C1300 4A00000A
	ds_read_b32 v75, v10 offset:4928                           // 0000000027A4: D86C1340 4B00000A
	ds_read_b32 v76, v10 offset:4992                           // 0000000027AC: D86C1380 4C00000A
	ds_read_b32 v77, v10 offset:5056                           // 0000000027B4: D86C13C0 4D00000A
	ds_read_b32 v78, v10 offset:5120                           // 0000000027BC: D86C1400 4E00000A
	ds_read_b32 v79, v10 offset:5184                           // 0000000027C4: D86C1440 4F00000A
	s_waitcnt lgkmcnt(0)                                       // 0000000027CC: BF8CC07F
	v_max3_f32 v48, |v64|, |v65|, v48                          // 0000000027D0: D1D30330 04C28340
	v_max3_f32 v48, |v66|, |v67|, v48                          // 0000000027D8: D1D30330 04C28742
	v_max3_f32 v48, |v68|, |v69|, v48                          // 0000000027E0: D1D30330 04C28B44
	v_max3_f32 v48, |v70|, |v71|, v48                          // 0000000027E8: D1D30330 04C28F46
	v_max3_f32 v48, |v72|, |v73|, v48                          // 0000000027F0: D1D30330 04C29348
	v_max3_f32 v48, |v74|, |v75|, v48                          // 0000000027F8: D1D30330 04C2974A
	v_max3_f32 v48, |v76|, |v77|, v48                          // 000000002800: D1D30330 04C29B4C
	v_max3_f32 v48, |v78|, |v79|, v48                          // 000000002808: D1D30330 04C29F4E
	v_rcp_f32_e32 v48, v48                                     // 000000002810: 7E604530
	s_nop 1                                                    // 000000002814: BF800001
	v_mul_f32_e32 v48, 0x43700000, v48                         // 000000002818: 0A6060FF 43700000
	v_mul_f32_e32 v80, v48, v80                                // 000000002820: 0AA0A130
	v_mul_f32_e32 v81, v48, v81                                // 000000002824: 0AA2A330
	v_mul_f32_e32 v82, v48, v82                                // 000000002828: 0AA4A530
	v_mul_f32_e32 v83, v48, v83                                // 00000000282C: 0AA6A730
	v_mul_f32_e32 v84, v48, v84                                // 000000002830: 0AA8A930
	v_mul_f32_e32 v85, v48, v85                                // 000000002834: 0AAAAB30
	v_mul_f32_e32 v86, v48, v86                                // 000000002838: 0AACAD30
	v_mul_f32_e32 v87, v48, v87                                // 00000000283C: 0AAEAF30
	v_rcp_f32_e32 v46, v48                                     // 000000002840: 7E5C4530
	v_cvt_pk_fp8_f32 v80, v80, v81                             // 000000002844: D2A20050 0002A350
	v_cvt_pk_fp8_f32 v80, v82, v83 op_sel:[0,0,1]              // 00000000284C: D2A24050 0002A752
	v_cvt_pk_fp8_f32 v81, v84, v85                             // 000000002854: D2A20051 0002AB54
	v_cvt_pk_fp8_f32 v81, v86, v87 op_sel:[0,0,1]              // 00000000285C: D2A24051 0002AF56
	ds_write_b32 v13, v80 offset:6272                          // 000000002864: D81A1880 0000500D
	ds_write_b32 v13, v81 offset:7296                          // 00000000286C: D81A1C80 0000510D
	s_waitcnt lgkmcnt(0)                                       // 000000002874: BF8CC07F
	s_barrier                                                  // 000000002878: BF8A0000
	v_and_b32_e32 v46, v9, v46                                 // 00000000287C: 265C5D09
	ds_read_b64 v[80:81], v12 offset:6272                      // 000000002880: D8EC1880 5000000C
	ds_read_b64 v[82:83], v12 offset:6400                      // 000000002888: D8EC1900 5200000C
	ds_read_b64 v[84:85], v12 offset:7296                      // 000000002890: D8EC1C80 5400000C
	ds_read_b64 v[86:87], v12 offset:7424                      // 000000002898: D8EC1D00 5600000C
	v_mov_b32_e32 v112, 0                                      // 0000000028A0: 7EE00280
	v_mov_b32_e32 v113, 0                                      // 0000000028A4: 7EE20280
	v_mov_b32_e32 v114, 0                                      // 0000000028A8: 7EE40280
	v_mov_b32_e32 v115, 0                                      // 0000000028AC: 7EE60280
	v_mov_b32_e32 v104, 0                                      // 0000000028B0: 7ED00280
	v_mov_b32_e32 v105, 0                                      // 0000000028B4: 7ED20280
	v_mov_b32_e32 v106, 0                                      // 0000000028B8: 7ED40280
	v_mov_b32_e32 v107, 0                                      // 0000000028BC: 7ED60280
	v_mov_b32_e32 v108, 0                                      // 0000000028C0: 7ED80280
	v_mov_b32_e32 v109, 0                                      // 0000000028C4: 7EDA0280
	v_mov_b32_e32 v110, 0                                      // 0000000028C8: 7EDC0280
	v_mov_b32_e32 v111, 0                                      // 0000000028CC: 7EDE0280
	v_or_b32_dpp v46, v46, v46 row_shr:8 row_mask:0xf bank_mask:0xf bound_ctrl:1// 0000000028D0: 285C5CFA FF09182E
	s_waitcnt vmcnt(8) lgkmcnt(0)                              // 0000000028D8: BF8C0078
	s_barrier                                                  // 0000000028DC: BF8A0000
	s_cmp_lt_u32 s73, 16                                       // 0000000028E0: BF0A9049
	s_cbranch_scc1 label_0969                                  // 0000000028E4: BF85076F
	s_cmp_lt_i32 s7, 2                                         // 0000000028E8: BF048207
	s_cbranch_scc0 label_05B4                                  // 0000000028EC: BF8403B8

00000000000028f0 <label_01FC>:
	s_waitcnt vmcnt(8) lgkmcnt(0)                              // 0000000028F0: BF8C0078
	v_mul_u32_u24_dpp v38, v17, v51 row_newbcast:0 row_mask:0xf bank_mask:0xf// 0000000028F4: 104C66FA FF015011
	v_mul_u32_u24_dpp v39, v17, v51 row_newbcast:4 row_mask:0xf bank_mask:0xf// 0000000028FC: 104E66FA FF015411
	v_mul_u32_u24_dpp v40, v17, v51 row_newbcast:8 row_mask:0xf bank_mask:0xf// 000000002904: 105066FA FF015811
	v_mul_u32_u24_dpp v41, v17, v51 row_newbcast:12 row_mask:0xf bank_mask:0xf// 00000000290C: 105266FA FF015C11
	v_add_u32_e32 v26, v38, v6                                 // 000000002914: 68340D26
	v_add_u32_e32 v27, v39, v6                                 // 000000002918: 68360D27
	v_add_u32_e32 v28, v40, v6                                 // 00000000291C: 68380D28
	v_add_u32_e32 v29, v41, v6                                 // 000000002920: 683A0D29
	v_mul_u32_u24_dpp v38, v17, v61 quad_perm:[0,0,0,0] row_mask:0xf bank_mask:0xf// 000000002924: 104C7AFA FF000011
	v_add_u32_e32 v3, v38, v57                                 // 00000000292C: 68067326
	v_mul_u32_u24_dpp v38, v17, v61 quad_perm:[0,0,0,0] row_mask:0xf bank_mask:0xf// 000000002930: 104C7AFA FF000011
	v_add_u32_e32 v54, v38, v58                                // 000000002938: 686C7526
	v_mfma_f32_16x16x32_fp8_fp8 v[88:91], a[0:1], v[80:81], 0  // 00000000293C: D3F30058 0A02A100
	v_mfma_f32_16x16x32_fp8_fp8 v[88:91], a[2:3], v[82:83], v[88:91]// 000000002944: D3F30058 0D62A502
	buffer_load_dwordx4 a[32:35], v26, s[16:19], 0 offen       // 00000000294C: E05C1000 8084201A
	v_mfma_f32_16x16x32_fp8_fp8 v[88:91], a[4:5], v[84:85], v[88:91]// 000000002954: D3F30058 0D62A904
	v_mfma_f32_16x16x32_fp8_fp8 v[88:91], a[6:7], v[86:87], v[88:91]// 00000000295C: D3F30058 0D62AD06
	buffer_load_dword v16, v1, s[24:27], 0 offen               // 000000002964: E0501000 80061001
	v_mfma_f32_16x16x32_fp8_fp8 v[92:95], a[8:9], v[80:81], 0  // 00000000296C: D3F3005C 0A02A108
	v_mfma_f32_16x16x32_fp8_fp8 v[92:95], a[10:11], v[82:83], v[92:95]// 000000002974: D3F3005C 0D72A50A
	buffer_load_dwordx4 a[36:39], v26, s[16:19], 0 offen offset:1024// 00000000297C: E05C1400 8084241A
	v_mfma_f32_16x16x32_fp8_fp8 v[92:95], a[12:13], v[84:85], v[92:95]// 000000002984: D3F3005C 0D72A90C
	v_mfma_f32_16x16x32_fp8_fp8 v[92:95], a[14:15], v[86:87], v[92:95]// 00000000298C: D3F3005C 0D72AD0E
	v_mfma_f32_16x16x32_fp8_fp8 v[96:99], a[16:17], v[80:81], 0// 000000002994: D3F30060 0A02A110
	v_mfma_f32_16x16x32_fp8_fp8 v[96:99], a[18:19], v[82:83], v[96:99]// 00000000299C: D3F30060 0D82A512
	buffer_load_dwordx4 a[40:43], v27, s[16:19], 0 offen       // 0000000029A4: E05C1000 8084281B
	v_mfma_f32_16x16x32_fp8_fp8 v[96:99], a[20:21], v[84:85], v[96:99]// 0000000029AC: D3F30060 0D82A914
	v_mfma_f32_16x16x32_fp8_fp8 v[96:99], a[22:23], v[86:87], v[96:99]// 0000000029B4: D3F30060 0D82AD16
	v_mfma_f32_16x16x32_fp8_fp8 v[100:103], a[24:25], v[80:81], 0// 0000000029BC: D3F30064 0A02A118
	v_mfma_f32_16x16x32_fp8_fp8 v[100:103], a[26:27], v[82:83], v[100:103]// 0000000029C4: D3F30064 0D92A51A
	buffer_load_dwordx4 a[44:47], v27, s[16:19], 0 offen offset:1024// 0000000029CC: E05C1400 80842C1B
	v_mfma_f32_16x16x32_fp8_fp8 v[100:103], a[28:29], v[84:85], v[100:103]// 0000000029D4: D3F30064 0D92A91C
	v_mfma_f32_16x16x32_fp8_fp8 v[100:103], a[30:31], v[86:87], v[100:103]// 0000000029DC: D3F30064 0D92AD1E
	buffer_load_dword v45, v3, s[32:35], 0 offen               // 0000000029E4: E0501000 80082D03
	v_mov_b32_dpp v38, v44 row_shr:4 row_mask:0xf bank_mask:0xf// 0000000029EC: 7E4C02FA FF01142C
	v_mov_b32_dpp v39, v44 row_shl:4 row_mask:0xf bank_mask:0xf// 0000000029F4: 7E4E02FA FF01042C
	v_cndmask_b32_e64 v124, v44, v38, s[44:45]                 // 0000000029FC: D100007C 00B24D2C
	v_cndmask_b32_e64 v125, v39, v44, s[44:45]                 // 000000002A04: D100007D 00B25927
	v_mov_b32_dpp v38, v55 row_shr:4 row_mask:0xf bank_mask:0xf// 000000002A0C: 7E4C02FA FF011437
	v_mov_b32_dpp v39, v55 row_shl:4 row_mask:0xf bank_mask:0xf// 000000002A14: 7E4E02FA FF010437
	v_cndmask_b32_e64 v126, v55, v38, s[44:45]                 // 000000002A1C: D100007E 00B24D37
	v_cndmask_b32_e64 v127, v39, v55, s[44:45]                 // 000000002A24: D100007F 00B26F27
	v_or_b32_dpp v88, v96, v88 row_shr:8 row_mask:0xf bank_mask:0xf bound_ctrl:1// 000000002A2C: 28B0B0FA FF091860
	v_or_b32_dpp v89, v97, v89 row_shr:8 row_mask:0xf bank_mask:0xf bound_ctrl:1// 000000002A34: 28B2B2FA FF091861
	v_or_b32_dpp v90, v98, v90 row_shr:8 row_mask:0xf bank_mask:0xf bound_ctrl:1// 000000002A3C: 28B4B4FA FF091862
	v_or_b32_dpp v91, v99, v91 row_shr:8 row_mask:0xf bank_mask:0xf bound_ctrl:1// 000000002A44: 28B6B6FA FF091863
	v_or_b32_dpp v92, v100, v92 row_shr:8 row_mask:0xf bank_mask:0xf bound_ctrl:1// 000000002A4C: 28B8B8FA FF091864
	v_or_b32_dpp v93, v101, v93 row_shr:8 row_mask:0xf bank_mask:0xf bound_ctrl:1// 000000002A54: 28BABAFA FF091865
	v_or_b32_dpp v94, v102, v94 row_shr:8 row_mask:0xf bank_mask:0xf bound_ctrl:1// 000000002A5C: 28BCBCFA FF091866
	v_or_b32_dpp v95, v103, v95 row_shr:8 row_mask:0xf bank_mask:0xf bound_ctrl:1// 000000002A64: 28BEBEFA FF091867
	buffer_load_dword v56, v54, s[36:39], 0 offen              // 000000002A6C: E0501000 80093836
	v_mul_f32_e32 v88, v46, v88                                // 000000002A74: 0AB0B12E
	v_mul_f32_e32 v89, v46, v89                                // 000000002A78: 0AB2B32E
	v_mul_f32_e32 v90, v46, v90                                // 000000002A7C: 0AB4B52E
	v_mul_f32_e32 v91, v46, v91                                // 000000002A80: 0AB6B72E
	v_mul_f32_e32 v92, v46, v92                                // 000000002A84: 0AB8B92E
	v_mul_f32_e32 v93, v46, v93                                // 000000002A88: 0ABABB2E
	v_mul_f32_e32 v94, v46, v94                                // 000000002A8C: 0ABCBD2E
	v_mul_f32_e32 v95, v46, v95                                // 000000002A90: 0ABEBF2E
	buffer_load_dwordx4 a[48:51], v28, s[16:19], 0 offen       // 000000002A94: E05C1000 8084301C
	v_mul_f32_dpp v88, v124, v88 quad_perm:[0,0,0,0] row_mask:0xf bank_mask:0xf// 000000002A9C: 0AB0B0FA FF00007C
	v_mul_f32_dpp v89, v124, v89 quad_perm:[1,1,1,1] row_mask:0xf bank_mask:0xf// 000000002AA4: 0AB2B2FA FF00557C
	v_mul_f32_dpp v90, v124, v90 quad_perm:[2,2,2,2] row_mask:0xf bank_mask:0xf// 000000002AAC: 0AB4B4FA FF00AA7C
	v_mul_f32_dpp v91, v124, v91 quad_perm:[3,3,3,3] row_mask:0xf bank_mask:0xf// 000000002AB4: 0AB6B6FA FF00FF7C
	v_mul_f32_dpp v92, v125, v92 quad_perm:[0,0,0,0] row_mask:0xf bank_mask:0xf// 000000002ABC: 0AB8B8FA FF00007D
	v_mul_f32_dpp v93, v125, v93 quad_perm:[1,1,1,1] row_mask:0xf bank_mask:0xf// 000000002AC4: 0ABABAFA FF00557D
	v_mul_f32_dpp v94, v125, v94 quad_perm:[2,2,2,2] row_mask:0xf bank_mask:0xf// 000000002ACC: 0ABCBCFA FF00AA7D
	v_mul_f32_dpp v95, v125, v95 quad_perm:[3,3,3,3] row_mask:0xf bank_mask:0xf// 000000002AD4: 0ABEBEFA FF00FF7D
	buffer_load_dwordx4 a[52:55], v28, s[16:19], 0 offen offset:1024// 000000002ADC: E05C1400 8084341C
	v_mov_b32_e32 v48, v88                                     // 000000002AE4: 7E600358
	v_max3_f32 v48, v88, v89, v48                              // 000000002AE8: D1D30030 04C2B358
	v_max3_f32 v48, v90, v91, v48                              // 000000002AF0: D1D30030 04C2B75A
	v_max3_f32 v48, v92, v93, v48                              // 000000002AF8: D1D30030 04C2BB5C
	v_max3_f32 v48, v94, v95, v48                              // 000000002B00: D1D30030 04C2BF5E
	ds_write_b32 v11, v48 offset:4224                          // 000000002B08: D81A1080 0000300B
	buffer_load_dwordx4 a[56:59], v29, s[16:19], 0 offen       // 000000002B10: E05C1000 8084381D
	v_mul_u32_u24_dpp v38, v17, v51 row_newbcast:1 row_mask:0xf bank_mask:0xf// 000000002B18: 104C66FA FF015111
	v_mul_u32_u24_dpp v39, v17, v51 row_newbcast:5 row_mask:0xf bank_mask:0xf// 000000002B20: 104E66FA FF015511
	v_mul_u32_u24_dpp v40, v17, v51 row_newbcast:9 row_mask:0xf bank_mask:0xf// 000000002B28: 105066FA FF015911
	v_mul_u32_u24_dpp v41, v17, v51 row_newbcast:13 row_mask:0xf bank_mask:0xf// 000000002B30: 105266FA FF015D11
	v_add_u32_e32 v34, v38, v7                                 // 000000002B38: 68440F26
	v_add_u32_e32 v35, v39, v7                                 // 000000002B3C: 68460F27
	v_add_u32_e32 v36, v40, v7                                 // 000000002B40: 68480F28
	v_add_u32_e32 v37, v41, v7                                 // 000000002B44: 684A0F29
	s_waitcnt lgkmcnt(0)                                       // 000000002B48: BF8CC07F
	s_barrier                                                  // 000000002B4C: BF8A0000
	ds_read_b32 v64, v10 offset:4224                           // 000000002B50: D86C1080 4000000A
	ds_read_b32 v65, v10 offset:4288                           // 000000002B58: D86C10C0 4100000A
	ds_read_b32 v66, v10 offset:4352                           // 000000002B60: D86C1100 4200000A
	ds_read_b32 v67, v10 offset:4416                           // 000000002B68: D86C1140 4300000A
	ds_read_b32 v68, v10 offset:4480                           // 000000002B70: D86C1180 4400000A
	ds_read_b32 v69, v10 offset:4544                           // 000000002B78: D86C11C0 4500000A
	ds_read_b32 v70, v10 offset:4608                           // 000000002B80: D86C1200 4600000A
	ds_read_b32 v71, v10 offset:4672                           // 000000002B88: D86C1240 4700000A
	ds_read_b32 v72, v10 offset:4736                           // 000000002B90: D86C1280 4800000A
	ds_read_b32 v73, v10 offset:4800                           // 000000002B98: D86C12C0 4900000A
	ds_read_b32 v74, v10 offset:4864                           // 000000002BA0: D86C1300 4A00000A
	ds_read_b32 v75, v10 offset:4928                           // 000000002BA8: D86C1340 4B00000A
	ds_read_b32 v76, v10 offset:4992                           // 000000002BB0: D86C1380 4C00000A
	ds_read_b32 v77, v10 offset:5056                           // 000000002BB8: D86C13C0 4D00000A
	ds_read_b32 v78, v10 offset:5120                           // 000000002BC0: D86C1400 4E00000A
	ds_read_b32 v79, v10 offset:5184                           // 000000002BC8: D86C1440 4F00000A
	buffer_load_dwordx4 a[60:63], v29, s[16:19], 0 offen offset:1024// 000000002BD0: E05C1400 80843C1D
	v_mul_f32_e32 v112, v49, v112                              // 000000002BD8: 0AE0E131
	v_mul_f32_e32 v113, v49, v113                              // 000000002BDC: 0AE2E331
	v_mul_f32_e32 v114, v49, v114                              // 000000002BE0: 0AE4E531
	v_mul_f32_e32 v115, v49, v115                              // 000000002BE4: 0AE6E731
	v_or_b32_dpp v104, v108, v104 row_shr:8 row_mask:0xf bank_mask:0xf bound_ctrl:1// 000000002BE8: 28D0D0FA FF09186C
	v_or_b32_dpp v105, v109, v105 row_shr:8 row_mask:0xf bank_mask:0xf bound_ctrl:1// 000000002BF0: 28D2D2FA FF09186D
	v_or_b32_dpp v106, v110, v106 row_shr:8 row_mask:0xf bank_mask:0xf bound_ctrl:1// 000000002BF8: 28D4D4FA FF09186E
	v_or_b32_dpp v107, v111, v107 row_shr:8 row_mask:0xf bank_mask:0xf bound_ctrl:1// 000000002C00: 28D6D6FA FF09186F
	s_waitcnt lgkmcnt(0)                                       // 000000002C08: BF8CC07F
	v_max3_f32 v48, v64, v65, v48                              // 000000002C0C: D1D30030 04C28340
	v_max3_f32 v48, v66, v67, v48                              // 000000002C14: D1D30030 04C28742
	v_max3_f32 v48, v68, v69, v48                              // 000000002C1C: D1D30030 04C28B44
	v_max3_f32 v48, v70, v71, v48                              // 000000002C24: D1D30030 04C28F46
	v_max3_f32 v48, v72, v73, v48                              // 000000002C2C: D1D30030 04C29348
	v_max3_f32 v48, v74, v75, v48                              // 000000002C34: D1D30030 04C2974A
	v_max3_f32 v48, v76, v77, v48                              // 000000002C3C: D1D30030 04C29B4C
	v_max3_f32 v48, v78, v79, v48                              // 000000002C44: D1D30030 04C29F4E
	buffer_load_dwordx4 a[96:99], v34, s[20:23], 0 offen       // 000000002C4C: E05C1000 80856022
	v_cmp_eq_u32_e64 s[40:41], v52, v14                        // 000000002C54: D0CA0028 00021D34
	s_nop 1                                                    // 000000002C5C: BF800001
	v_mov_b32_dpp v38, v48 row_ror:8 row_mask:0xf bank_mask:0xf// 000000002C60: 7E4C02FA FF012830
	v_max_f32_e32 v48, v48, v38                                // 000000002C68: 16604D30
	v_max_f32_e32 v15, v48, v14                                // 000000002C6C: 161E1D30
	v_mul_f32_e32 v50, s64, v15                                // 000000002C70: 0A641E40
	v_fma_f32 v88, v88, s64, -v50                              // 000000002C74: D1CB0058 84C88158
	v_fma_f32 v89, v89, s64, -v50                              // 000000002C7C: D1CB0059 84C88159
	v_fma_f32 v90, v90, s64, -v50                              // 000000002C84: D1CB005A 84C8815A
	v_fma_f32 v91, v91, s64, -v50                              // 000000002C8C: D1CB005B 84C8815B
	v_fma_f32 v92, v92, s64, -v50                              // 000000002C94: D1CB005C 84C8815C
	v_fma_f32 v93, v93, s64, -v50                              // 000000002C9C: D1CB005D 84C8815D
	v_fma_f32 v94, v94, s64, -v50                              // 000000002CA4: D1CB005E 84C8815E
	v_fma_f32 v95, v95, s64, -v50                              // 000000002CAC: D1CB005F 84C8815F
	buffer_load_dwordx4 a[100:103], v35, s[20:23], 0 offen     // 000000002CB4: E05C1000 80856423
	v_exp_f32_e32 v88, v88                                     // 000000002CBC: 7EB04158
	v_exp_f32_e32 v89, v89                                     // 000000002CC0: 7EB24159
	v_exp_f32_e32 v90, v90                                     // 000000002CC4: 7EB4415A
	v_exp_f32_e32 v91, v91                                     // 000000002CC8: 7EB6415B
	v_exp_f32_e32 v92, v92                                     // 000000002CCC: 7EB8415C
	v_exp_f32_e32 v93, v93                                     // 000000002CD0: 7EBA415D
	v_exp_f32_e32 v94, v94                                     // 000000002CD4: 7EBC415E
	v_exp_f32_e32 v95, v95                                     // 000000002CD8: 7EBE415F
	buffer_load_dwordx4 a[104:107], v36, s[20:23], 0 offen     // 000000002CDC: E05C1000 80856824
	v_mul_f32_dpp v116, v126, v88 quad_perm:[0,0,0,0] row_mask:0xf bank_mask:0xf// 000000002CE4: 0AE8B0FA FF00007E
	v_mul_f32_dpp v117, v126, v89 quad_perm:[1,1,1,1] row_mask:0xf bank_mask:0xf// 000000002CEC: 0AEAB2FA FF00557E
	v_mul_f32_dpp v118, v126, v90 quad_perm:[2,2,2,2] row_mask:0xf bank_mask:0xf// 000000002CF4: 0AECB4FA FF00AA7E
	v_mul_f32_dpp v119, v126, v91 quad_perm:[3,3,3,3] row_mask:0xf bank_mask:0xf// 000000002CFC: 0AEEB6FA FF00FF7E
	v_mul_f32_dpp v120, v127, v92 quad_perm:[0,0,0,0] row_mask:0xf bank_mask:0xf// 000000002D04: 0AF0B8FA FF00007F
	v_mul_f32_dpp v121, v127, v93 quad_perm:[1,1,1,1] row_mask:0xf bank_mask:0xf// 000000002D0C: 0AF2BAFA FF00557F
	v_mul_f32_dpp v122, v127, v94 quad_perm:[2,2,2,2] row_mask:0xf bank_mask:0xf// 000000002D14: 0AF4BCFA FF00AA7F
	v_mul_f32_dpp v123, v127, v95 quad_perm:[3,3,3,3] row_mask:0xf bank_mask:0xf// 000000002D1C: 0AF6BEFA FF00FF7F
	v_mov_b32_e32 v48, 0x358637bd                              // 000000002D24: 7E6002FF 358637BD
	v_max3_f32 v48, |v116|, |v117|, v48                        // 000000002D2C: D1D30330 04C2EB74
	v_max3_f32 v48, |v118|, |v119|, v48                        // 000000002D34: D1D30330 04C2EF76
	v_max3_f32 v48, |v120|, |v121|, v48                        // 000000002D3C: D1D30330 04C2F378
	v_max3_f32 v48, |v122|, |v123|, v48                        // 000000002D44: D1D30330 04C2F77A
	buffer_load_dwordx4 a[108:111], v37, s[20:23], 0 offen     // 000000002D4C: E05C1000 80856C25
	ds_write_b32 v11, v48 offset:5248                          // 000000002D54: D81A1480 0000300B
	v_sub_f32_e32 v49, v14, v15                                // 000000002D5C: 04621F0E
	v_cndmask_b32_e64 v49, v49, 0, s[40:41]                    // 000000002D60: D1000031 00A10131
	v_mov_b32_e32 v14, v15                                     // 000000002D68: 7E1C030F
	v_mul_f32_e32 v49, s64, v49                                // 000000002D6C: 0A626240
	v_exp_f32_e32 v49, v49                                     // 000000002D70: 7E624131
	s_waitcnt lgkmcnt(0)                                       // 000000002D74: BF8CC07F
	s_barrier                                                  // 000000002D78: BF8A0000
	ds_read_b32 v64, v10 offset:5248                           // 000000002D7C: D86C1480 4000000A
	ds_read_b32 v65, v10 offset:5312                           // 000000002D84: D86C14C0 4100000A
	ds_read_b32 v66, v10 offset:5376                           // 000000002D8C: D86C1500 4200000A
	ds_read_b32 v67, v10 offset:5440                           // 000000002D94: D86C1540 4300000A
	ds_read_b32 v68, v10 offset:5504                           // 000000002D9C: D86C1580 4400000A
	ds_read_b32 v69, v10 offset:5568                           // 000000002DA4: D86C15C0 4500000A
	ds_read_b32 v70, v10 offset:5632                           // 000000002DAC: D86C1600 4600000A
	ds_read_b32 v71, v10 offset:5696                           // 000000002DB4: D86C1640 4700000A
	ds_read_b32 v72, v10 offset:5760                           // 000000002DBC: D86C1680 4800000A
	ds_read_b32 v73, v10 offset:5824                           // 000000002DC4: D86C16C0 4900000A
	ds_read_b32 v74, v10 offset:5888                           // 000000002DCC: D86C1700 4A00000A
	ds_read_b32 v75, v10 offset:5952                           // 000000002DD4: D86C1740 4B00000A
	ds_read_b32 v76, v10 offset:6016                           // 000000002DDC: D86C1780 4C00000A
	ds_read_b32 v77, v10 offset:6080                           // 000000002DE4: D86C17C0 4D00000A
	ds_read_b32 v78, v10 offset:6144                           // 000000002DEC: D86C1800 4E00000A
	ds_read_b32 v79, v10 offset:6208                           // 000000002DF4: D86C1840 4F00000A
	v_mul_f32_e32 v42, v49, v42                                // 000000002DFC: 0A545531
	v_mov_b32_e32 v43, v88                                     // 000000002E00: 7E560358
	v_add_f32_e32 v43, v89, v43                                // 000000002E04: 02565759
	v_add_f32_e32 v43, v90, v43                                // 000000002E08: 0256575A
	v_add_f32_e32 v43, v91, v43                                // 000000002E0C: 0256575B
	v_add_f32_e32 v43, v92, v43                                // 000000002E10: 0256575C
	v_add_f32_e32 v43, v93, v43                                // 000000002E14: 0256575D
	v_add_f32_e32 v43, v94, v43                                // 000000002E18: 0256575E
	v_add_f32_e32 v43, v95, v43                                // 000000002E1C: 0256575F
	v_add_f32_e32 v42, v43, v42                                // 000000002E20: 0254552B
	s_waitcnt lgkmcnt(0)                                       // 000000002E24: BF8CC07F
	v_max3_f32 v48, |v64|, |v65|, v48                          // 000000002E28: D1D30330 04C28340
	v_max3_f32 v48, |v66|, |v67|, v48                          // 000000002E30: D1D30330 04C28742
	v_max3_f32 v48, |v68|, |v69|, v48                          // 000000002E38: D1D30330 04C28B44
	v_max3_f32 v48, |v70|, |v71|, v48                          // 000000002E40: D1D30330 04C28F46
	v_max3_f32 v48, |v72|, |v73|, v48                          // 000000002E48: D1D30330 04C29348
	v_max3_f32 v48, |v74|, |v75|, v48                          // 000000002E50: D1D30330 04C2974A
	v_max3_f32 v48, |v76|, |v77|, v48                          // 000000002E58: D1D30330 04C29B4C
	v_max3_f32 v48, |v78|, |v79|, v48                          // 000000002E60: D1D30330 04C29F4E
	s_nop 2                                                    // 000000002E68: BF800002
	v_mov_b32_dpp v38, v48 row_ror:8 row_mask:0xf bank_mask:0xf// 000000002E6C: 7E4C02FA FF012830
	v_max_f32_e32 v48, v48, v38                                // 000000002E74: 16604D30
	v_rcp_f32_e32 v48, v48                                     // 000000002E78: 7E604530
	s_nop 1                                                    // 000000002E7C: BF800001
	v_mul_f32_e32 v48, 0x43700000, v48                         // 000000002E80: 0A6060FF 43700000
	v_mul_f32_e32 v88, v48, v116                               // 000000002E88: 0AB0E930
	v_mul_f32_e32 v89, v48, v117                               // 000000002E8C: 0AB2EB30
	v_mul_f32_e32 v90, v48, v118                               // 000000002E90: 0AB4ED30
	v_mul_f32_e32 v91, v48, v119                               // 000000002E94: 0AB6EF30
	v_mul_f32_e32 v92, v48, v120                               // 000000002E98: 0AB8F130
	v_mul_f32_e32 v93, v48, v121                               // 000000002E9C: 0ABAF330
	v_mul_f32_e32 v94, v48, v122                               // 000000002EA0: 0ABCF530
	v_mul_f32_e32 v95, v48, v123                               // 000000002EA4: 0ABEF730
	v_cvt_pk_fp8_f32 v88, v88, v89                             // 000000002EA8: D2A20058 0002B358
	v_cvt_pk_fp8_f32 v88, v90, v91 op_sel:[0,0,1]              // 000000002EB0: D2A24058 0002B75A
	v_cvt_pk_fp8_f32 v89, v92, v93                             // 000000002EB8: D2A20059 0002BB5C
	v_cvt_pk_fp8_f32 v89, v94, v95 op_sel:[0,0,1]              // 000000002EC0: D2A24059 0002BF5E
	ds_write_b32 v13, v88 offset:6272                          // 000000002EC8: D81A1880 0000580D
	ds_write_b32 v13, v89 offset:7296                          // 000000002ED0: D81A1C80 0000590D
	v_mul_f32_e32 v104, v47, v104                              // 000000002ED8: 0AD0D12F
	v_mul_f32_e32 v105, v47, v105                              // 000000002EDC: 0AD2D32F
	v_mul_f32_e32 v106, v47, v106                              // 000000002EE0: 0AD4D52F
	v_mul_f32_e32 v107, v47, v107                              // 000000002EE4: 0AD6D72F
	v_rcp_f32_e32 v47, v48                                     // 000000002EE8: 7E5E4530
	s_waitcnt lgkmcnt(0)                                       // 000000002EEC: BF8CC07F
	s_barrier                                                  // 000000002EF0: BF8A0000
	ds_read_b64 v[88:89], v12 offset:6272                      // 000000002EF4: D8EC1880 5800000C
	ds_read_b64 v[90:91], v12 offset:6400                      // 000000002EFC: D8EC1900 5A00000C
	ds_read_b64 v[92:93], v12 offset:7296                      // 000000002F04: D8EC1C80 5C00000C
	ds_read_b64 v[94:95], v12 offset:7424                      // 000000002F0C: D8EC1D00 5E00000C
	v_add_f32_e32 v112, v112, v104                             // 000000002F14: 02E0D170
	v_add_f32_e32 v113, v113, v105                             // 000000002F18: 02E2D371
	v_add_f32_e32 v114, v114, v106                             // 000000002F1C: 02E4D572
	v_add_f32_e32 v115, v115, v107                             // 000000002F20: 02E6D773
	s_waitcnt lgkmcnt(3)                                       // 000000002F24: BF8CC37F
	v_mov_b32_dpp v96, v88 row_shl:8 row_mask:0xf bank_mask:0xf bound_ctrl:1// 000000002F28: 7EC002FA FF090858
	v_and_b32_e32 v88, v88, v9                                 // 000000002F30: 26B01358
	v_mov_b32_dpp v97, v89 row_shl:8 row_mask:0xf bank_mask:0xf bound_ctrl:1// 000000002F34: 7EC202FA FF090859
	v_and_b32_e32 v89, v89, v9                                 // 000000002F3C: 26B21359
	s_waitcnt lgkmcnt(2)                                       // 000000002F40: BF8CC27F
	v_mov_b32_dpp v98, v90 row_shl:8 row_mask:0xf bank_mask:0xf bound_ctrl:1// 000000002F44: 7EC402FA FF09085A
	v_and_b32_e32 v90, v90, v9                                 // 000000002F4C: 26B4135A
	v_mov_b32_dpp v99, v91 row_shl:8 row_mask:0xf bank_mask:0xf bound_ctrl:1// 000000002F50: 7EC602FA FF09085B
	v_and_b32_e32 v91, v91, v9                                 // 000000002F58: 26B6135B
	s_waitcnt lgkmcnt(1)                                       // 000000002F5C: BF8CC17F
	v_mov_b32_dpp v100, v92 row_shl:8 row_mask:0xf bank_mask:0xf bound_ctrl:1// 000000002F60: 7EC802FA FF09085C
	v_and_b32_e32 v92, v92, v9                                 // 000000002F68: 26B8135C
	v_mov_b32_dpp v101, v93 row_shl:8 row_mask:0xf bank_mask:0xf bound_ctrl:1// 000000002F6C: 7ECA02FA FF09085D
	v_and_b32_e32 v93, v93, v9                                 // 000000002F74: 26BA135D
	s_waitcnt lgkmcnt(0)                                       // 000000002F78: BF8CC07F
	v_mov_b32_dpp v102, v94 row_shl:8 row_mask:0xf bank_mask:0xf bound_ctrl:1// 000000002F7C: 7ECC02FA FF09085E
	v_and_b32_e32 v94, v94, v9                                 // 000000002F84: 26BC135E
	v_mov_b32_dpp v103, v95 row_shl:8 row_mask:0xf bank_mask:0xf bound_ctrl:1// 000000002F88: 7ECE02FA FF09085F
	v_and_b32_e32 v95, v95, v9                                 // 000000002F90: 26BE135F
	s_waitcnt vmcnt(15)                                        // 000000002F94: BF8C0F7F
	v_mfma_f32_16x16x32_fp8_fp8 v[104:107], a[64:65], v[88:89], 0// 000000002F98: D3F30068 0A02B140
	v_mfma_f32_16x16x32_fp8_fp8 v[104:107], a[66:67], v[90:91], v[104:107]// 000000002FA0: D3F30068 0DA2B542
	buffer_load_dwordx4 a[112:115], v34, s[20:23], 0 offen offset:1024// 000000002FA8: E05C1400 80857022
	v_mfma_f32_16x16x32_fp8_fp8 v[104:107], a[68:69], v[92:93], v[104:107]// 000000002FB0: D3F30068 0DA2B944
	v_mfma_f32_16x16x32_fp8_fp8 v[104:107], a[70:71], v[94:95], v[104:107]// 000000002FB8: D3F30068 0DA2BD46
	v_mfma_f32_16x16x32_fp8_fp8 v[104:107], a[72:73], v[96:97], v[104:107]// 000000002FC0: D3F30068 0DA2C148
	v_mfma_f32_16x16x32_fp8_fp8 v[104:107], a[74:75], v[98:99], v[104:107]// 000000002FC8: D3F30068 0DA2C54A
	buffer_load_dwordx4 a[116:119], v35, s[20:23], 0 offen offset:1024// 000000002FD0: E05C1400 80857423
	v_mfma_f32_16x16x32_fp8_fp8 v[104:107], a[76:77], v[100:101], v[104:107]// 000000002FD8: D3F30068 0DA2C94C
	v_mfma_f32_16x16x32_fp8_fp8 v[104:107], a[78:79], v[102:103], v[104:107]// 000000002FE0: D3F30068 0DA2CD4E
	v_mfma_f32_16x16x32_fp8_fp8 v[108:111], a[80:81], v[88:89], 0// 000000002FE8: D3F3006C 0A02B150
	v_mfma_f32_16x16x32_fp8_fp8 v[108:111], a[82:83], v[90:91], v[108:111]// 000000002FF0: D3F3006C 0DB2B552
	buffer_load_dwordx4 a[120:123], v36, s[20:23], 0 offen offset:1024// 000000002FF8: E05C1400 80857824
	v_mfma_f32_16x16x32_fp8_fp8 v[108:111], a[84:85], v[92:93], v[108:111]// 000000003000: D3F3006C 0DB2B954
	v_mfma_f32_16x16x32_fp8_fp8 v[108:111], a[86:87], v[94:95], v[108:111]// 000000003008: D3F3006C 0DB2BD56
	v_mfma_f32_16x16x32_fp8_fp8 v[108:111], a[88:89], v[96:97], v[108:111]// 000000003010: D3F3006C 0DB2C158
	v_mfma_f32_16x16x32_fp8_fp8 v[108:111], a[90:91], v[98:99], v[108:111]// 000000003018: D3F3006C 0DB2C55A
	buffer_load_dwordx4 a[124:127], v37, s[20:23], 0 offen offset:1024// 000000003020: E05C1400 80857C25
	v_mfma_f32_16x16x32_fp8_fp8 v[108:111], a[92:93], v[100:101], v[108:111]// 000000003028: D3F3006C 0DB2C95C
	s_lshr_b32 s57, s70, 4                                     // 000000003030: 8F398446
	s_add_u32 s57, 48, s57                                     // 000000003034: 803939B0
	v_mfma_f32_16x16x32_fp8_fp8 v[108:111], a[94:95], v[102:103], v[108:111]// 000000003038: D3F3006C 0DB2CD5E
	s_cmp_ge_u32 s57, s73                                      // 000000003040: BF094939
	s_cselect_b32 s56, 0, s56                                  // 000000003044: 85383880
	v_add_u32_e32 v1, s56, v1                                  // 000000003048: 68020238
	s_addk_i32 s70, 0x100                                      // 00000000304C: B7460100
	s_cmp_lt_i32 s70, s71                                      // 000000003050: BF044746
	s_cbranch_scc0 label_05B1                                  // 000000003054: BF8401DB
	s_waitcnt vmcnt(8) lgkmcnt(0)                              // 000000003058: BF8C0078
	v_mul_u32_u24_dpp v38, v16, v51 row_newbcast:0 row_mask:0xf bank_mask:0xf// 00000000305C: 104C66FA FF015010
	v_mul_u32_u24_dpp v39, v16, v51 row_newbcast:4 row_mask:0xf bank_mask:0xf// 000000003064: 104E66FA FF015410
	v_mul_u32_u24_dpp v40, v16, v51 row_newbcast:8 row_mask:0xf bank_mask:0xf// 00000000306C: 105066FA FF015810
	v_mul_u32_u24_dpp v41, v16, v51 row_newbcast:12 row_mask:0xf bank_mask:0xf// 000000003074: 105266FA FF015C10
	v_add_u32_e32 v22, v38, v6                                 // 00000000307C: 682C0D26
	v_add_u32_e32 v23, v39, v6                                 // 000000003080: 682E0D27
	v_add_u32_e32 v24, v40, v6                                 // 000000003084: 68300D28
	v_add_u32_e32 v25, v41, v6                                 // 000000003088: 68320D29
	v_mul_u32_u24_dpp v38, v16, v61 quad_perm:[0,0,0,0] row_mask:0xf bank_mask:0xf// 00000000308C: 104C7AFA FF000010
	v_add_u32_e32 v2, v38, v57                                 // 000000003094: 68047326
	v_mul_u32_u24_dpp v38, v16, v61 quad_perm:[0,0,0,0] row_mask:0xf bank_mask:0xf// 000000003098: 104C7AFA FF000010
	v_add_u32_e32 v53, v38, v58                                // 0000000030A0: 686A7526
	v_mfma_f32_16x16x32_fp8_fp8 v[88:91], a[32:33], v[80:81], 0// 0000000030A4: D3F30058 0A02A120
	v_mfma_f32_16x16x32_fp8_fp8 v[88:91], a[34:35], v[82:83], v[88:91]// 0000000030AC: D3F30058 0D62A522
	buffer_load_dwordx4 a[0:3], v22, s[16:19], 0 offen         // 0000000030B4: E05C1000 80840016
	v_mfma_f32_16x16x32_fp8_fp8 v[88:91], a[36:37], v[84:85], v[88:91]// 0000000030BC: D3F30058 0D62A924
	v_mfma_f32_16x16x32_fp8_fp8 v[88:91], a[38:39], v[86:87], v[88:91]// 0000000030C4: D3F30058 0D62AD26
	buffer_load_dword v17, v1, s[24:27], 0 offen               // 0000000030CC: E0501000 80061101
	v_mfma_f32_16x16x32_fp8_fp8 v[92:95], a[40:41], v[80:81], 0// 0000000030D4: D3F3005C 0A02A128
	v_mfma_f32_16x16x32_fp8_fp8 v[92:95], a[42:43], v[82:83], v[92:95]// 0000000030DC: D3F3005C 0D72A52A
	buffer_load_dwordx4 a[4:7], v22, s[16:19], 0 offen offset:1024// 0000000030E4: E05C1400 80840416
	v_mfma_f32_16x16x32_fp8_fp8 v[92:95], a[44:45], v[84:85], v[92:95]// 0000000030EC: D3F3005C 0D72A92C
	v_mfma_f32_16x16x32_fp8_fp8 v[92:95], a[46:47], v[86:87], v[92:95]// 0000000030F4: D3F3005C 0D72AD2E
	v_mfma_f32_16x16x32_fp8_fp8 v[96:99], a[48:49], v[80:81], 0// 0000000030FC: D3F30060 0A02A130
	v_mfma_f32_16x16x32_fp8_fp8 v[96:99], a[50:51], v[82:83], v[96:99]// 000000003104: D3F30060 0D82A532
	buffer_load_dwordx4 a[8:11], v23, s[16:19], 0 offen        // 00000000310C: E05C1000 80840817
	v_mfma_f32_16x16x32_fp8_fp8 v[96:99], a[52:53], v[84:85], v[96:99]// 000000003114: D3F30060 0D82A934
	v_mfma_f32_16x16x32_fp8_fp8 v[96:99], a[54:55], v[86:87], v[96:99]// 00000000311C: D3F30060 0D82AD36
	v_mfma_f32_16x16x32_fp8_fp8 v[100:103], a[56:57], v[80:81], 0// 000000003124: D3F30064 0A02A138
	v_mfma_f32_16x16x32_fp8_fp8 v[100:103], a[58:59], v[82:83], v[100:103]// 00000000312C: D3F30064 0D92A53A
	buffer_load_dwordx4 a[12:15], v23, s[16:19], 0 offen offset:1024// 000000003134: E05C1400 80840C17
	v_mfma_f32_16x16x32_fp8_fp8 v[100:103], a[60:61], v[84:85], v[100:103]// 00000000313C: D3F30064 0D92A93C
	v_mfma_f32_16x16x32_fp8_fp8 v[100:103], a[62:63], v[86:87], v[100:103]// 000000003144: D3F30064 0D92AD3E
	buffer_load_dword v44, v2, s[32:35], 0 offen               // 00000000314C: E0501000 80082C02
	v_mov_b32_dpp v38, v45 row_shr:4 row_mask:0xf bank_mask:0xf// 000000003154: 7E4C02FA FF01142D
	v_mov_b32_dpp v39, v45 row_shl:4 row_mask:0xf bank_mask:0xf// 00000000315C: 7E4E02FA FF01042D
	v_cndmask_b32_e64 v124, v45, v38, s[44:45]                 // 000000003164: D100007C 00B24D2D
	v_cndmask_b32_e64 v125, v39, v45, s[44:45]                 // 00000000316C: D100007D 00B25B27
	v_mov_b32_dpp v38, v56 row_shr:4 row_mask:0xf bank_mask:0xf// 000000003174: 7E4C02FA FF011438
	v_mov_b32_dpp v39, v56 row_shl:4 row_mask:0xf bank_mask:0xf// 00000000317C: 7E4E02FA FF010438
	v_cndmask_b32_e64 v126, v56, v38, s[44:45]                 // 000000003184: D100007E 00B24D38
	v_cndmask_b32_e64 v127, v39, v56, s[44:45]                 // 00000000318C: D100007F 00B27127
	v_or_b32_dpp v88, v96, v88 row_shr:8 row_mask:0xf bank_mask:0xf bound_ctrl:1// 000000003194: 28B0B0FA FF091860
	v_or_b32_dpp v89, v97, v89 row_shr:8 row_mask:0xf bank_mask:0xf bound_ctrl:1// 00000000319C: 28B2B2FA FF091861
	v_or_b32_dpp v90, v98, v90 row_shr:8 row_mask:0xf bank_mask:0xf bound_ctrl:1// 0000000031A4: 28B4B4FA FF091862
	v_or_b32_dpp v91, v99, v91 row_shr:8 row_mask:0xf bank_mask:0xf bound_ctrl:1// 0000000031AC: 28B6B6FA FF091863
	v_or_b32_dpp v92, v100, v92 row_shr:8 row_mask:0xf bank_mask:0xf bound_ctrl:1// 0000000031B4: 28B8B8FA FF091864
	v_or_b32_dpp v93, v101, v93 row_shr:8 row_mask:0xf bank_mask:0xf bound_ctrl:1// 0000000031BC: 28BABAFA FF091865
	v_or_b32_dpp v94, v102, v94 row_shr:8 row_mask:0xf bank_mask:0xf bound_ctrl:1// 0000000031C4: 28BCBCFA FF091866
	v_or_b32_dpp v95, v103, v95 row_shr:8 row_mask:0xf bank_mask:0xf bound_ctrl:1// 0000000031CC: 28BEBEFA FF091867
	buffer_load_dword v55, v53, s[36:39], 0 offen              // 0000000031D4: E0501000 80093735
	v_mul_f32_e32 v88, v46, v88                                // 0000000031DC: 0AB0B12E
	v_mul_f32_e32 v89, v46, v89                                // 0000000031E0: 0AB2B32E
	v_mul_f32_e32 v90, v46, v90                                // 0000000031E4: 0AB4B52E
	v_mul_f32_e32 v91, v46, v91                                // 0000000031E8: 0AB6B72E
	v_mul_f32_e32 v92, v46, v92                                // 0000000031EC: 0AB8B92E
	v_mul_f32_e32 v93, v46, v93                                // 0000000031F0: 0ABABB2E
	v_mul_f32_e32 v94, v46, v94                                // 0000000031F4: 0ABCBD2E
	v_mul_f32_e32 v95, v46, v95                                // 0000000031F8: 0ABEBF2E
	buffer_load_dwordx4 a[16:19], v24, s[16:19], 0 offen       // 0000000031FC: E05C1000 80841018
	v_mul_f32_dpp v88, v124, v88 quad_perm:[0,0,0,0] row_mask:0xf bank_mask:0xf// 000000003204: 0AB0B0FA FF00007C
	v_mul_f32_dpp v89, v124, v89 quad_perm:[1,1,1,1] row_mask:0xf bank_mask:0xf// 00000000320C: 0AB2B2FA FF00557C
	v_mul_f32_dpp v90, v124, v90 quad_perm:[2,2,2,2] row_mask:0xf bank_mask:0xf// 000000003214: 0AB4B4FA FF00AA7C
	v_mul_f32_dpp v91, v124, v91 quad_perm:[3,3,3,3] row_mask:0xf bank_mask:0xf// 00000000321C: 0AB6B6FA FF00FF7C
	v_mul_f32_dpp v92, v125, v92 quad_perm:[0,0,0,0] row_mask:0xf bank_mask:0xf// 000000003224: 0AB8B8FA FF00007D
	v_mul_f32_dpp v93, v125, v93 quad_perm:[1,1,1,1] row_mask:0xf bank_mask:0xf// 00000000322C: 0ABABAFA FF00557D
	v_mul_f32_dpp v94, v125, v94 quad_perm:[2,2,2,2] row_mask:0xf bank_mask:0xf// 000000003234: 0ABCBCFA FF00AA7D
	v_mul_f32_dpp v95, v125, v95 quad_perm:[3,3,3,3] row_mask:0xf bank_mask:0xf// 00000000323C: 0ABEBEFA FF00FF7D
	buffer_load_dwordx4 a[20:23], v24, s[16:19], 0 offen offset:1024// 000000003244: E05C1400 80841418
	v_mov_b32_e32 v48, v88                                     // 00000000324C: 7E600358
	v_max3_f32 v48, v88, v89, v48                              // 000000003250: D1D30030 04C2B358
	v_max3_f32 v48, v90, v91, v48                              // 000000003258: D1D30030 04C2B75A
	v_max3_f32 v48, v92, v93, v48                              // 000000003260: D1D30030 04C2BB5C
	v_max3_f32 v48, v94, v95, v48                              // 000000003268: D1D30030 04C2BF5E
	ds_write_b32 v11, v48 offset:4224                          // 000000003270: D81A1080 0000300B
	buffer_load_dwordx4 a[24:27], v25, s[16:19], 0 offen       // 000000003278: E05C1000 80841819
	v_mul_u32_u24_dpp v38, v16, v51 row_newbcast:1 row_mask:0xf bank_mask:0xf// 000000003280: 104C66FA FF015110
	v_mul_u32_u24_dpp v39, v16, v51 row_newbcast:5 row_mask:0xf bank_mask:0xf// 000000003288: 104E66FA FF015510
	v_mul_u32_u24_dpp v40, v16, v51 row_newbcast:9 row_mask:0xf bank_mask:0xf// 000000003290: 105066FA FF015910
	v_mul_u32_u24_dpp v41, v16, v51 row_newbcast:13 row_mask:0xf bank_mask:0xf// 000000003298: 105266FA FF015D10
	v_add_u32_e32 v30, v38, v7                                 // 0000000032A0: 683C0F26
	v_add_u32_e32 v31, v39, v7                                 // 0000000032A4: 683E0F27
	v_add_u32_e32 v32, v40, v7                                 // 0000000032A8: 68400F28
	v_add_u32_e32 v33, v41, v7                                 // 0000000032AC: 68420F29
	s_waitcnt lgkmcnt(0)                                       // 0000000032B0: BF8CC07F
	s_barrier                                                  // 0000000032B4: BF8A0000
	ds_read_b32 v64, v10 offset:4224                           // 0000000032B8: D86C1080 4000000A
	ds_read_b32 v65, v10 offset:4288                           // 0000000032C0: D86C10C0 4100000A
	ds_read_b32 v66, v10 offset:4352                           // 0000000032C8: D86C1100 4200000A
	ds_read_b32 v67, v10 offset:4416                           // 0000000032D0: D86C1140 4300000A
	ds_read_b32 v68, v10 offset:4480                           // 0000000032D8: D86C1180 4400000A
	ds_read_b32 v69, v10 offset:4544                           // 0000000032E0: D86C11C0 4500000A
	ds_read_b32 v70, v10 offset:4608                           // 0000000032E8: D86C1200 4600000A
	ds_read_b32 v71, v10 offset:4672                           // 0000000032F0: D86C1240 4700000A
	ds_read_b32 v72, v10 offset:4736                           // 0000000032F8: D86C1280 4800000A
	ds_read_b32 v73, v10 offset:4800                           // 000000003300: D86C12C0 4900000A
	ds_read_b32 v74, v10 offset:4864                           // 000000003308: D86C1300 4A00000A
	ds_read_b32 v75, v10 offset:4928                           // 000000003310: D86C1340 4B00000A
	ds_read_b32 v76, v10 offset:4992                           // 000000003318: D86C1380 4C00000A
	ds_read_b32 v77, v10 offset:5056                           // 000000003320: D86C13C0 4D00000A
	ds_read_b32 v78, v10 offset:5120                           // 000000003328: D86C1400 4E00000A
	ds_read_b32 v79, v10 offset:5184                           // 000000003330: D86C1440 4F00000A
	buffer_load_dwordx4 a[28:31], v25, s[16:19], 0 offen offset:1024// 000000003338: E05C1400 80841C19
	v_mul_f32_e32 v112, v49, v112                              // 000000003340: 0AE0E131
	v_mul_f32_e32 v113, v49, v113                              // 000000003344: 0AE2E331
	v_mul_f32_e32 v114, v49, v114                              // 000000003348: 0AE4E531
	v_mul_f32_e32 v115, v49, v115                              // 00000000334C: 0AE6E731
	v_or_b32_dpp v104, v108, v104 row_shr:8 row_mask:0xf bank_mask:0xf bound_ctrl:1// 000000003350: 28D0D0FA FF09186C
	v_or_b32_dpp v105, v109, v105 row_shr:8 row_mask:0xf bank_mask:0xf bound_ctrl:1// 000000003358: 28D2D2FA FF09186D
	v_or_b32_dpp v106, v110, v106 row_shr:8 row_mask:0xf bank_mask:0xf bound_ctrl:1// 000000003360: 28D4D4FA FF09186E
	v_or_b32_dpp v107, v111, v107 row_shr:8 row_mask:0xf bank_mask:0xf bound_ctrl:1// 000000003368: 28D6D6FA FF09186F
	s_waitcnt lgkmcnt(0)                                       // 000000003370: BF8CC07F
	v_max3_f32 v48, v64, v65, v48                              // 000000003374: D1D30030 04C28340
	v_max3_f32 v48, v66, v67, v48                              // 00000000337C: D1D30030 04C28742
	v_max3_f32 v48, v68, v69, v48                              // 000000003384: D1D30030 04C28B44
	v_max3_f32 v48, v70, v71, v48                              // 00000000338C: D1D30030 04C28F46
	v_max3_f32 v48, v72, v73, v48                              // 000000003394: D1D30030 04C29348
	v_max3_f32 v48, v74, v75, v48                              // 00000000339C: D1D30030 04C2974A
	v_max3_f32 v48, v76, v77, v48                              // 0000000033A4: D1D30030 04C29B4C
	v_max3_f32 v48, v78, v79, v48                              // 0000000033AC: D1D30030 04C29F4E
	buffer_load_dwordx4 a[64:67], v30, s[20:23], 0 offen       // 0000000033B4: E05C1000 8085401E
	v_cmp_eq_u32_e64 s[40:41], v52, v14                        // 0000000033BC: D0CA0028 00021D34
	s_nop 1                                                    // 0000000033C4: BF800001
	v_mov_b32_dpp v38, v48 row_ror:8 row_mask:0xf bank_mask:0xf// 0000000033C8: 7E4C02FA FF012830
	v_max_f32_e32 v48, v48, v38                                // 0000000033D0: 16604D30
	v_max_f32_e32 v15, v48, v14                                // 0000000033D4: 161E1D30
	v_mul_f32_e32 v50, s64, v15                                // 0000000033D8: 0A641E40
	v_fma_f32 v88, v88, s64, -v50                              // 0000000033DC: D1CB0058 84C88158
	v_fma_f32 v89, v89, s64, -v50                              // 0000000033E4: D1CB0059 84C88159
	v_fma_f32 v90, v90, s64, -v50                              // 0000000033EC: D1CB005A 84C8815A
	v_fma_f32 v91, v91, s64, -v50                              // 0000000033F4: D1CB005B 84C8815B
	v_fma_f32 v92, v92, s64, -v50                              // 0000000033FC: D1CB005C 84C8815C
	v_fma_f32 v93, v93, s64, -v50                              // 000000003404: D1CB005D 84C8815D
	v_fma_f32 v94, v94, s64, -v50                              // 00000000340C: D1CB005E 84C8815E
	v_fma_f32 v95, v95, s64, -v50                              // 000000003414: D1CB005F 84C8815F
	buffer_load_dwordx4 a[68:71], v31, s[20:23], 0 offen       // 00000000341C: E05C1000 8085441F
	v_exp_f32_e32 v88, v88                                     // 000000003424: 7EB04158
	v_exp_f32_e32 v89, v89                                     // 000000003428: 7EB24159
	v_exp_f32_e32 v90, v90                                     // 00000000342C: 7EB4415A
	v_exp_f32_e32 v91, v91                                     // 000000003430: 7EB6415B
	v_exp_f32_e32 v92, v92                                     // 000000003434: 7EB8415C
	v_exp_f32_e32 v93, v93                                     // 000000003438: 7EBA415D
	v_exp_f32_e32 v94, v94                                     // 00000000343C: 7EBC415E
	v_exp_f32_e32 v95, v95                                     // 000000003440: 7EBE415F
	buffer_load_dwordx4 a[72:75], v32, s[20:23], 0 offen       // 000000003444: E05C1000 80854820
	v_mul_f32_dpp v116, v126, v88 quad_perm:[0,0,0,0] row_mask:0xf bank_mask:0xf// 00000000344C: 0AE8B0FA FF00007E
	v_mul_f32_dpp v117, v126, v89 quad_perm:[1,1,1,1] row_mask:0xf bank_mask:0xf// 000000003454: 0AEAB2FA FF00557E
	v_mul_f32_dpp v118, v126, v90 quad_perm:[2,2,2,2] row_mask:0xf bank_mask:0xf// 00000000345C: 0AECB4FA FF00AA7E
	v_mul_f32_dpp v119, v126, v91 quad_perm:[3,3,3,3] row_mask:0xf bank_mask:0xf// 000000003464: 0AEEB6FA FF00FF7E
	v_mul_f32_dpp v120, v127, v92 quad_perm:[0,0,0,0] row_mask:0xf bank_mask:0xf// 00000000346C: 0AF0B8FA FF00007F
	v_mul_f32_dpp v121, v127, v93 quad_perm:[1,1,1,1] row_mask:0xf bank_mask:0xf// 000000003474: 0AF2BAFA FF00557F
	v_mul_f32_dpp v122, v127, v94 quad_perm:[2,2,2,2] row_mask:0xf bank_mask:0xf// 00000000347C: 0AF4BCFA FF00AA7F
	v_mul_f32_dpp v123, v127, v95 quad_perm:[3,3,3,3] row_mask:0xf bank_mask:0xf// 000000003484: 0AF6BEFA FF00FF7F
	v_mov_b32_e32 v48, 0x358637bd                              // 00000000348C: 7E6002FF 358637BD
	v_max3_f32 v48, |v116|, |v117|, v48                        // 000000003494: D1D30330 04C2EB74
	v_max3_f32 v48, |v118|, |v119|, v48                        // 00000000349C: D1D30330 04C2EF76
	v_max3_f32 v48, |v120|, |v121|, v48                        // 0000000034A4: D1D30330 04C2F378
	v_max3_f32 v48, |v122|, |v123|, v48                        // 0000000034AC: D1D30330 04C2F77A
	buffer_load_dwordx4 a[76:79], v33, s[20:23], 0 offen       // 0000000034B4: E05C1000 80854C21
	ds_write_b32 v11, v48 offset:5248                          // 0000000034BC: D81A1480 0000300B
	v_sub_f32_e32 v49, v14, v15                                // 0000000034C4: 04621F0E
	v_cndmask_b32_e64 v49, v49, 0, s[40:41]                    // 0000000034C8: D1000031 00A10131
	v_mov_b32_e32 v14, v15                                     // 0000000034D0: 7E1C030F
	v_mul_f32_e32 v49, s64, v49                                // 0000000034D4: 0A626240
	v_exp_f32_e32 v49, v49                                     // 0000000034D8: 7E624131
	s_waitcnt lgkmcnt(0)                                       // 0000000034DC: BF8CC07F
	s_barrier                                                  // 0000000034E0: BF8A0000
	ds_read_b32 v64, v10 offset:5248                           // 0000000034E4: D86C1480 4000000A
	ds_read_b32 v65, v10 offset:5312                           // 0000000034EC: D86C14C0 4100000A
	ds_read_b32 v66, v10 offset:5376                           // 0000000034F4: D86C1500 4200000A
	ds_read_b32 v67, v10 offset:5440                           // 0000000034FC: D86C1540 4300000A
	ds_read_b32 v68, v10 offset:5504                           // 000000003504: D86C1580 4400000A
	ds_read_b32 v69, v10 offset:5568                           // 00000000350C: D86C15C0 4500000A
	ds_read_b32 v70, v10 offset:5632                           // 000000003514: D86C1600 4600000A
	ds_read_b32 v71, v10 offset:5696                           // 00000000351C: D86C1640 4700000A
	ds_read_b32 v72, v10 offset:5760                           // 000000003524: D86C1680 4800000A
	ds_read_b32 v73, v10 offset:5824                           // 00000000352C: D86C16C0 4900000A
	ds_read_b32 v74, v10 offset:5888                           // 000000003534: D86C1700 4A00000A
	ds_read_b32 v75, v10 offset:5952                           // 00000000353C: D86C1740 4B00000A
	ds_read_b32 v76, v10 offset:6016                           // 000000003544: D86C1780 4C00000A
	ds_read_b32 v77, v10 offset:6080                           // 00000000354C: D86C17C0 4D00000A
	ds_read_b32 v78, v10 offset:6144                           // 000000003554: D86C1800 4E00000A
	ds_read_b32 v79, v10 offset:6208                           // 00000000355C: D86C1840 4F00000A
	v_mul_f32_e32 v42, v49, v42                                // 000000003564: 0A545531
	v_mov_b32_e32 v43, v88                                     // 000000003568: 7E560358
	v_add_f32_e32 v43, v89, v43                                // 00000000356C: 02565759
	v_add_f32_e32 v43, v90, v43                                // 000000003570: 0256575A
	v_add_f32_e32 v43, v91, v43                                // 000000003574: 0256575B
	v_add_f32_e32 v43, v92, v43                                // 000000003578: 0256575C
	v_add_f32_e32 v43, v93, v43                                // 00000000357C: 0256575D
	v_add_f32_e32 v43, v94, v43                                // 000000003580: 0256575E
	v_add_f32_e32 v43, v95, v43                                // 000000003584: 0256575F
	v_add_f32_e32 v42, v43, v42                                // 000000003588: 0254552B
	s_waitcnt lgkmcnt(0)                                       // 00000000358C: BF8CC07F
	v_max3_f32 v48, |v64|, |v65|, v48                          // 000000003590: D1D30330 04C28340
	v_max3_f32 v48, |v66|, |v67|, v48                          // 000000003598: D1D30330 04C28742
	v_max3_f32 v48, |v68|, |v69|, v48                          // 0000000035A0: D1D30330 04C28B44
	v_max3_f32 v48, |v70|, |v71|, v48                          // 0000000035A8: D1D30330 04C28F46
	v_max3_f32 v48, |v72|, |v73|, v48                          // 0000000035B0: D1D30330 04C29348
	v_max3_f32 v48, |v74|, |v75|, v48                          // 0000000035B8: D1D30330 04C2974A
	v_max3_f32 v48, |v76|, |v77|, v48                          // 0000000035C0: D1D30330 04C29B4C
	v_max3_f32 v48, |v78|, |v79|, v48                          // 0000000035C8: D1D30330 04C29F4E
	s_nop 2                                                    // 0000000035D0: BF800002
	v_mov_b32_dpp v38, v48 row_ror:8 row_mask:0xf bank_mask:0xf// 0000000035D4: 7E4C02FA FF012830
	v_max_f32_e32 v48, v48, v38                                // 0000000035DC: 16604D30
	v_rcp_f32_e32 v48, v48                                     // 0000000035E0: 7E604530
	s_nop 1                                                    // 0000000035E4: BF800001
	v_mul_f32_e32 v48, 0x43700000, v48                         // 0000000035E8: 0A6060FF 43700000
	v_mul_f32_e32 v88, v48, v116                               // 0000000035F0: 0AB0E930
	v_mul_f32_e32 v89, v48, v117                               // 0000000035F4: 0AB2EB30
	v_mul_f32_e32 v90, v48, v118                               // 0000000035F8: 0AB4ED30
	v_mul_f32_e32 v91, v48, v119                               // 0000000035FC: 0AB6EF30
	v_mul_f32_e32 v92, v48, v120                               // 000000003600: 0AB8F130
	v_mul_f32_e32 v93, v48, v121                               // 000000003604: 0ABAF330
	v_mul_f32_e32 v94, v48, v122                               // 000000003608: 0ABCF530
	v_mul_f32_e32 v95, v48, v123                               // 00000000360C: 0ABEF730
	v_cvt_pk_fp8_f32 v88, v88, v89                             // 000000003610: D2A20058 0002B358
	v_cvt_pk_fp8_f32 v88, v90, v91 op_sel:[0,0,1]              // 000000003618: D2A24058 0002B75A
	v_cvt_pk_fp8_f32 v89, v92, v93                             // 000000003620: D2A20059 0002BB5C
	v_cvt_pk_fp8_f32 v89, v94, v95 op_sel:[0,0,1]              // 000000003628: D2A24059 0002BF5E
	ds_write_b32 v13, v88 offset:6272                          // 000000003630: D81A1880 0000580D
	ds_write_b32 v13, v89 offset:7296                          // 000000003638: D81A1C80 0000590D
	v_mul_f32_e32 v104, v47, v104                              // 000000003640: 0AD0D12F
	v_mul_f32_e32 v105, v47, v105                              // 000000003644: 0AD2D32F
	v_mul_f32_e32 v106, v47, v106                              // 000000003648: 0AD4D52F
	v_mul_f32_e32 v107, v47, v107                              // 00000000364C: 0AD6D72F
	v_rcp_f32_e32 v47, v48                                     // 000000003650: 7E5E4530
	s_waitcnt lgkmcnt(0)                                       // 000000003654: BF8CC07F
	s_barrier                                                  // 000000003658: BF8A0000
	ds_read_b64 v[88:89], v12 offset:6272                      // 00000000365C: D8EC1880 5800000C
	ds_read_b64 v[90:91], v12 offset:6400                      // 000000003664: D8EC1900 5A00000C
	ds_read_b64 v[92:93], v12 offset:7296                      // 00000000366C: D8EC1C80 5C00000C
	ds_read_b64 v[94:95], v12 offset:7424                      // 000000003674: D8EC1D00 5E00000C
	v_add_f32_e32 v112, v112, v104                             // 00000000367C: 02E0D170
	v_add_f32_e32 v113, v113, v105                             // 000000003680: 02E2D371
	v_add_f32_e32 v114, v114, v106                             // 000000003684: 02E4D572
	v_add_f32_e32 v115, v115, v107                             // 000000003688: 02E6D773
	s_waitcnt lgkmcnt(3)                                       // 00000000368C: BF8CC37F
	v_mov_b32_dpp v96, v88 row_shl:8 row_mask:0xf bank_mask:0xf bound_ctrl:1// 000000003690: 7EC002FA FF090858
	v_and_b32_e32 v88, v88, v9                                 // 000000003698: 26B01358
	v_mov_b32_dpp v97, v89 row_shl:8 row_mask:0xf bank_mask:0xf bound_ctrl:1// 00000000369C: 7EC202FA FF090859
	v_and_b32_e32 v89, v89, v9                                 // 0000000036A4: 26B21359
	s_waitcnt lgkmcnt(2)                                       // 0000000036A8: BF8CC27F
	v_mov_b32_dpp v98, v90 row_shl:8 row_mask:0xf bank_mask:0xf bound_ctrl:1// 0000000036AC: 7EC402FA FF09085A
	v_and_b32_e32 v90, v90, v9                                 // 0000000036B4: 26B4135A
	v_mov_b32_dpp v99, v91 row_shl:8 row_mask:0xf bank_mask:0xf bound_ctrl:1// 0000000036B8: 7EC602FA FF09085B
	v_and_b32_e32 v91, v91, v9                                 // 0000000036C0: 26B6135B
	s_waitcnt lgkmcnt(1)                                       // 0000000036C4: BF8CC17F
	v_mov_b32_dpp v100, v92 row_shl:8 row_mask:0xf bank_mask:0xf bound_ctrl:1// 0000000036C8: 7EC802FA FF09085C
	v_and_b32_e32 v92, v92, v9                                 // 0000000036D0: 26B8135C
	v_mov_b32_dpp v101, v93 row_shl:8 row_mask:0xf bank_mask:0xf bound_ctrl:1// 0000000036D4: 7ECA02FA FF09085D
	v_and_b32_e32 v93, v93, v9                                 // 0000000036DC: 26BA135D
	s_waitcnt lgkmcnt(0)                                       // 0000000036E0: BF8CC07F
	v_mov_b32_dpp v102, v94 row_shl:8 row_mask:0xf bank_mask:0xf bound_ctrl:1// 0000000036E4: 7ECC02FA FF09085E
	v_and_b32_e32 v94, v94, v9                                 // 0000000036EC: 26BC135E
	v_mov_b32_dpp v103, v95 row_shl:8 row_mask:0xf bank_mask:0xf bound_ctrl:1// 0000000036F0: 7ECE02FA FF09085F
	v_and_b32_e32 v95, v95, v9                                 // 0000000036F8: 26BE135F
	s_waitcnt vmcnt(15)                                        // 0000000036FC: BF8C0F7F
	v_mfma_f32_16x16x32_fp8_fp8 v[104:107], a[96:97], v[88:89], 0// 000000003700: D3F30068 0A02B160
	v_mfma_f32_16x16x32_fp8_fp8 v[104:107], a[98:99], v[90:91], v[104:107]// 000000003708: D3F30068 0DA2B562
	buffer_load_dwordx4 a[80:83], v30, s[20:23], 0 offen offset:1024// 000000003710: E05C1400 8085501E
	v_mfma_f32_16x16x32_fp8_fp8 v[104:107], a[100:101], v[92:93], v[104:107]// 000000003718: D3F30068 0DA2B964
	v_mfma_f32_16x16x32_fp8_fp8 v[104:107], a[102:103], v[94:95], v[104:107]// 000000003720: D3F30068 0DA2BD66
	v_mfma_f32_16x16x32_fp8_fp8 v[104:107], a[104:105], v[96:97], v[104:107]// 000000003728: D3F30068 0DA2C168
	v_mfma_f32_16x16x32_fp8_fp8 v[104:107], a[106:107], v[98:99], v[104:107]// 000000003730: D3F30068 0DA2C56A
	buffer_load_dwordx4 a[84:87], v31, s[20:23], 0 offen offset:1024// 000000003738: E05C1400 8085541F
	v_mfma_f32_16x16x32_fp8_fp8 v[104:107], a[108:109], v[100:101], v[104:107]// 000000003740: D3F30068 0DA2C96C
	v_mfma_f32_16x16x32_fp8_fp8 v[104:107], a[110:111], v[102:103], v[104:107]// 000000003748: D3F30068 0DA2CD6E
	v_mfma_f32_16x16x32_fp8_fp8 v[108:111], a[112:113], v[88:89], 0// 000000003750: D3F3006C 0A02B170
	v_mfma_f32_16x16x32_fp8_fp8 v[108:111], a[114:115], v[90:91], v[108:111]// 000000003758: D3F3006C 0DB2B572
	buffer_load_dwordx4 a[88:91], v32, s[20:23], 0 offen offset:1024// 000000003760: E05C1400 80855820
	v_mfma_f32_16x16x32_fp8_fp8 v[108:111], a[116:117], v[92:93], v[108:111]// 000000003768: D3F3006C 0DB2B974
	v_mfma_f32_16x16x32_fp8_fp8 v[108:111], a[118:119], v[94:95], v[108:111]// 000000003770: D3F3006C 0DB2BD76
	v_mfma_f32_16x16x32_fp8_fp8 v[108:111], a[120:121], v[96:97], v[108:111]// 000000003778: D3F3006C 0DB2C178
	v_mfma_f32_16x16x32_fp8_fp8 v[108:111], a[122:123], v[98:99], v[108:111]// 000000003780: D3F3006C 0DB2C57A
	buffer_load_dwordx4 a[92:95], v33, s[20:23], 0 offen offset:1024// 000000003788: E05C1400 80855C21
	v_mfma_f32_16x16x32_fp8_fp8 v[108:111], a[124:125], v[100:101], v[108:111]// 000000003790: D3F3006C 0DB2C97C
	s_lshr_b32 s57, s70, 4                                     // 000000003798: 8F398446
	s_add_u32 s57, 48, s57                                     // 00000000379C: 803939B0
	v_mfma_f32_16x16x32_fp8_fp8 v[108:111], a[126:127], v[102:103], v[108:111]// 0000000037A0: D3F3006C 0DB2CD7E
	s_cmp_ge_u32 s57, s73                                      // 0000000037A8: BF094939
	s_cselect_b32 s56, 0, s56                                  // 0000000037AC: 85383880
	v_add_u32_e32 v1, s56, v1                                  // 0000000037B0: 68020238
	s_addk_i32 s70, 0x100                                      // 0000000037B4: B7460100
	s_cmp_lt_i32 s70, s71                                      // 0000000037B8: BF044746
	s_cbranch_scc0 label_05B1                                  // 0000000037BC: BF840001
	s_branch label_01FC                                        // 0000000037C0: BF82FC4B

00000000000037c4 <label_05B1>:
	s_nop 0                                                    // 0000000037C4: BF800000
	s_nop 0                                                    // 0000000037C8: BF800000
	s_branch label_0969                                        // 0000000037CC: BF8203B5

00000000000037d0 <label_05B4>:
	s_waitcnt vmcnt(8) lgkmcnt(0)                              // 0000000037D0: BF8C0078
	v_mul_u32_u24_dpp v38, v17, v51 row_newbcast:0 row_mask:0xf bank_mask:0xf// 0000000037D4: 104C66FA FF015011
	v_mul_u32_u24_dpp v39, v17, v51 row_newbcast:4 row_mask:0xf bank_mask:0xf// 0000000037DC: 104E66FA FF015411
	v_mul_u32_u24_dpp v40, v17, v51 row_newbcast:8 row_mask:0xf bank_mask:0xf// 0000000037E4: 105066FA FF015811
	v_mul_u32_u24_dpp v41, v17, v51 row_newbcast:12 row_mask:0xf bank_mask:0xf// 0000000037EC: 105266FA FF015C11
	v_add_u32_e32 v26, v38, v6                                 // 0000000037F4: 68340D26
	v_add_u32_e32 v27, v39, v6                                 // 0000000037F8: 68360D27
	v_add_u32_e32 v28, v40, v6                                 // 0000000037FC: 68380D28
	v_add_u32_e32 v29, v41, v6                                 // 000000003800: 683A0D29
	v_mul_u32_u24_dpp v38, v17, v61 quad_perm:[0,0,0,0] row_mask:0xf bank_mask:0xf// 000000003804: 104C7AFA FF000011
	v_add_u32_e32 v3, v38, v57                                 // 00000000380C: 68067326
	v_mul_u32_u24_dpp v38, v17, v61 quad_perm:[0,0,0,0] row_mask:0xf bank_mask:0xf// 000000003810: 104C7AFA FF000011
	v_add_u32_e32 v54, v38, v58                                // 000000003818: 686C7526
	v_mfma_f32_16x16x32_fp8_fp8 v[88:91], a[0:1], v[80:81], 0  // 00000000381C: D3F30058 0A02A100
	buffer_load_dwordx4 a[32:35], v26, s[16:19], 0 offen       // 000000003824: E05C1000 8084201A
	v_mfma_f32_16x16x32_fp8_fp8 v[88:91], a[2:3], v[82:83], v[88:91]// 00000000382C: D3F30058 0D62A502
	v_mfma_f32_16x16x32_fp8_fp8 v[88:91], a[4:5], v[84:85], v[88:91]// 000000003834: D3F30058 0D62A904
	buffer_load_dword v16, v1, s[24:27], 0 offen               // 00000000383C: E0501000 80061001
	v_mfma_f32_16x16x32_fp8_fp8 v[88:91], a[6:7], v[86:87], v[88:91]// 000000003844: D3F30058 0D62AD06
	v_mfma_f32_16x16x32_fp8_fp8 v[92:95], a[8:9], v[80:81], 0  // 00000000384C: D3F3005C 0A02A108
	buffer_load_dwordx4 a[36:39], v26, s[16:19], 0 offen offset:1024// 000000003854: E05C1400 8084241A
	v_mfma_f32_16x16x32_fp8_fp8 v[92:95], a[10:11], v[82:83], v[92:95]// 00000000385C: D3F3005C 0D72A50A
	v_mfma_f32_16x16x32_fp8_fp8 v[92:95], a[12:13], v[84:85], v[92:95]// 000000003864: D3F3005C 0D72A90C
	v_mfma_f32_16x16x32_fp8_fp8 v[92:95], a[14:15], v[86:87], v[92:95]// 00000000386C: D3F3005C 0D72AD0E
	v_mfma_f32_16x16x32_fp8_fp8 v[96:99], a[16:17], v[80:81], 0// 000000003874: D3F30060 0A02A110
	buffer_load_dwordx4 a[40:43], v27, s[16:19], 0 offen       // 00000000387C: E05C1000 8084281B
	v_mfma_f32_16x16x32_fp8_fp8 v[96:99], a[18:19], v[82:83], v[96:99]// 000000003884: D3F30060 0D82A512
	v_mfma_f32_16x16x32_fp8_fp8 v[96:99], a[20:21], v[84:85], v[96:99]// 00000000388C: D3F30060 0D82A914
	v_mfma_f32_16x16x32_fp8_fp8 v[96:99], a[22:23], v[86:87], v[96:99]// 000000003894: D3F30060 0D82AD16
	v_mfma_f32_16x16x32_fp8_fp8 v[100:103], a[24:25], v[80:81], 0// 00000000389C: D3F30064 0A02A118
	buffer_load_dwordx4 a[44:47], v27, s[16:19], 0 offen offset:1024// 0000000038A4: E05C1400 80842C1B
	v_mfma_f32_16x16x32_fp8_fp8 v[100:103], a[26:27], v[82:83], v[100:103]// 0000000038AC: D3F30064 0D92A51A
	v_mfma_f32_16x16x32_fp8_fp8 v[100:103], a[28:29], v[84:85], v[100:103]// 0000000038B4: D3F30064 0D92A91C
	v_mfma_f32_16x16x32_fp8_fp8 v[100:103], a[30:31], v[86:87], v[100:103]// 0000000038BC: D3F30064 0D92AD1E
	buffer_load_dword v45, v3, s[32:35], 0 offen               // 0000000038C4: E0501000 80082D03
	v_mov_b32_dpp v38, v44 row_shr:4 row_mask:0xf bank_mask:0xf// 0000000038CC: 7E4C02FA FF01142C
	v_mov_b32_dpp v39, v44 row_shl:4 row_mask:0xf bank_mask:0xf// 0000000038D4: 7E4E02FA FF01042C
	v_cndmask_b32_e64 v124, v44, v38, s[44:45]                 // 0000000038DC: D100007C 00B24D2C
	v_cndmask_b32_e64 v125, v39, v44, s[44:45]                 // 0000000038E4: D100007D 00B25927
	v_mov_b32_dpp v38, v55 row_shr:4 row_mask:0xf bank_mask:0xf// 0000000038EC: 7E4C02FA FF011437
	v_mov_b32_dpp v39, v55 row_shl:4 row_mask:0xf bank_mask:0xf// 0000000038F4: 7E4E02FA FF010437
	v_cndmask_b32_e64 v126, v55, v38, s[44:45]                 // 0000000038FC: D100007E 00B24D37
	v_cndmask_b32_e64 v127, v39, v55, s[44:45]                 // 000000003904: D100007F 00B26F27
	v_or_b32_dpp v88, v96, v88 row_shr:8 row_mask:0xf bank_mask:0xf bound_ctrl:1// 00000000390C: 28B0B0FA FF091860
	v_or_b32_dpp v89, v97, v89 row_shr:8 row_mask:0xf bank_mask:0xf bound_ctrl:1// 000000003914: 28B2B2FA FF091861
	v_or_b32_dpp v90, v98, v90 row_shr:8 row_mask:0xf bank_mask:0xf bound_ctrl:1// 00000000391C: 28B4B4FA FF091862
	v_or_b32_dpp v91, v99, v91 row_shr:8 row_mask:0xf bank_mask:0xf bound_ctrl:1// 000000003924: 28B6B6FA FF091863
	v_or_b32_dpp v92, v100, v92 row_shr:8 row_mask:0xf bank_mask:0xf bound_ctrl:1// 00000000392C: 28B8B8FA FF091864
	v_or_b32_dpp v93, v101, v93 row_shr:8 row_mask:0xf bank_mask:0xf bound_ctrl:1// 000000003934: 28BABAFA FF091865
	v_or_b32_dpp v94, v102, v94 row_shr:8 row_mask:0xf bank_mask:0xf bound_ctrl:1// 00000000393C: 28BCBCFA FF091866
	v_or_b32_dpp v95, v103, v95 row_shr:8 row_mask:0xf bank_mask:0xf bound_ctrl:1// 000000003944: 28BEBEFA FF091867
	buffer_load_dword v56, v54, s[36:39], 0 offen              // 00000000394C: E0501000 80093836
	v_mul_f32_e32 v88, v46, v88                                // 000000003954: 0AB0B12E
	v_mul_f32_e32 v89, v46, v89                                // 000000003958: 0AB2B32E
	v_mul_f32_e32 v90, v46, v90                                // 00000000395C: 0AB4B52E
	v_mul_f32_e32 v91, v46, v91                                // 000000003960: 0AB6B72E
	v_mul_f32_e32 v92, v46, v92                                // 000000003964: 0AB8B92E
	v_mul_f32_e32 v93, v46, v93                                // 000000003968: 0ABABB2E
	v_mul_f32_e32 v94, v46, v94                                // 00000000396C: 0ABCBD2E
	v_mul_f32_e32 v95, v46, v95                                // 000000003970: 0ABEBF2E
	buffer_load_dwordx4 a[48:51], v28, s[16:19], 0 offen       // 000000003974: E05C1000 8084301C
	v_mul_f32_dpp v88, v124, v88 quad_perm:[0,0,0,0] row_mask:0xf bank_mask:0xf// 00000000397C: 0AB0B0FA FF00007C
	v_mul_f32_dpp v89, v124, v89 quad_perm:[1,1,1,1] row_mask:0xf bank_mask:0xf// 000000003984: 0AB2B2FA FF00557C
	v_mul_f32_dpp v90, v124, v90 quad_perm:[2,2,2,2] row_mask:0xf bank_mask:0xf// 00000000398C: 0AB4B4FA FF00AA7C
	v_mul_f32_dpp v91, v124, v91 quad_perm:[3,3,3,3] row_mask:0xf bank_mask:0xf// 000000003994: 0AB6B6FA FF00FF7C
	v_mul_f32_dpp v92, v125, v92 quad_perm:[0,0,0,0] row_mask:0xf bank_mask:0xf// 00000000399C: 0AB8B8FA FF00007D
	v_mul_f32_dpp v93, v125, v93 quad_perm:[1,1,1,1] row_mask:0xf bank_mask:0xf// 0000000039A4: 0ABABAFA FF00557D
	v_mul_f32_dpp v94, v125, v94 quad_perm:[2,2,2,2] row_mask:0xf bank_mask:0xf// 0000000039AC: 0ABCBCFA FF00AA7D
	v_mul_f32_dpp v95, v125, v95 quad_perm:[3,3,3,3] row_mask:0xf bank_mask:0xf// 0000000039B4: 0ABEBEFA FF00FF7D
	buffer_load_dwordx4 a[52:55], v28, s[16:19], 0 offen offset:1024// 0000000039BC: E05C1400 8084341C
	v_mov_b32_e32 v48, v88                                     // 0000000039C4: 7E600358
	v_max3_f32 v48, v88, v89, v48                              // 0000000039C8: D1D30030 04C2B358
	v_max3_f32 v48, v90, v91, v48                              // 0000000039D0: D1D30030 04C2B75A
	v_max3_f32 v48, v92, v93, v48                              // 0000000039D8: D1D30030 04C2BB5C
	v_max3_f32 v48, v94, v95, v48                              // 0000000039E0: D1D30030 04C2BF5E
	ds_write_b32 v11, v48 offset:4224                          // 0000000039E8: D81A1080 0000300B
	buffer_load_dwordx4 a[56:59], v29, s[16:19], 0 offen       // 0000000039F0: E05C1000 8084381D
	v_mul_u32_u24_dpp v38, v17, v51 row_newbcast:1 row_mask:0xf bank_mask:0xf// 0000000039F8: 104C66FA FF015111
	v_mul_u32_u24_dpp v39, v17, v51 row_newbcast:5 row_mask:0xf bank_mask:0xf// 000000003A00: 104E66FA FF015511
	v_mul_u32_u24_dpp v40, v17, v51 row_newbcast:9 row_mask:0xf bank_mask:0xf// 000000003A08: 105066FA FF015911
	v_mul_u32_u24_dpp v41, v17, v51 row_newbcast:13 row_mask:0xf bank_mask:0xf// 000000003A10: 105266FA FF015D11
	v_add_u32_e32 v34, v38, v7                                 // 000000003A18: 68440F26
	v_add_u32_e32 v35, v39, v7                                 // 000000003A1C: 68460F27
	v_add_u32_e32 v36, v40, v7                                 // 000000003A20: 68480F28
	v_add_u32_e32 v37, v41, v7                                 // 000000003A24: 684A0F29
	s_waitcnt lgkmcnt(0)                                       // 000000003A28: BF8CC07F
	s_barrier                                                  // 000000003A2C: BF8A0000
	ds_read_b32 v64, v10 offset:4224                           // 000000003A30: D86C1080 4000000A
	ds_read_b32 v65, v10 offset:4288                           // 000000003A38: D86C10C0 4100000A
	ds_read_b32 v66, v10 offset:4352                           // 000000003A40: D86C1100 4200000A
	ds_read_b32 v67, v10 offset:4416                           // 000000003A48: D86C1140 4300000A
	ds_read_b32 v68, v10 offset:4480                           // 000000003A50: D86C1180 4400000A
	ds_read_b32 v69, v10 offset:4544                           // 000000003A58: D86C11C0 4500000A
	ds_read_b32 v70, v10 offset:4608                           // 000000003A60: D86C1200 4600000A
	ds_read_b32 v71, v10 offset:4672                           // 000000003A68: D86C1240 4700000A
	ds_read_b32 v72, v10 offset:4736                           // 000000003A70: D86C1280 4800000A
	ds_read_b32 v73, v10 offset:4800                           // 000000003A78: D86C12C0 4900000A
	ds_read_b32 v74, v10 offset:4864                           // 000000003A80: D86C1300 4A00000A
	ds_read_b32 v75, v10 offset:4928                           // 000000003A88: D86C1340 4B00000A
	ds_read_b32 v76, v10 offset:4992                           // 000000003A90: D86C1380 4C00000A
	ds_read_b32 v77, v10 offset:5056                           // 000000003A98: D86C13C0 4D00000A
	ds_read_b32 v78, v10 offset:5120                           // 000000003AA0: D86C1400 4E00000A
	ds_read_b32 v79, v10 offset:5184                           // 000000003AA8: D86C1440 4F00000A
	buffer_load_dwordx4 a[60:63], v29, s[16:19], 0 offen offset:1024// 000000003AB0: E05C1400 80843C1D
	v_mul_f32_e32 v112, v49, v112                              // 000000003AB8: 0AE0E131
	v_mul_f32_e32 v113, v49, v113                              // 000000003ABC: 0AE2E331
	v_mul_f32_e32 v114, v49, v114                              // 000000003AC0: 0AE4E531
	v_mul_f32_e32 v115, v49, v115                              // 000000003AC4: 0AE6E731
	v_or_b32_dpp v104, v108, v104 row_shr:8 row_mask:0xf bank_mask:0xf bound_ctrl:1// 000000003AC8: 28D0D0FA FF09186C
	v_or_b32_dpp v105, v109, v105 row_shr:8 row_mask:0xf bank_mask:0xf bound_ctrl:1// 000000003AD0: 28D2D2FA FF09186D
	v_or_b32_dpp v106, v110, v106 row_shr:8 row_mask:0xf bank_mask:0xf bound_ctrl:1// 000000003AD8: 28D4D4FA FF09186E
	v_or_b32_dpp v107, v111, v107 row_shr:8 row_mask:0xf bank_mask:0xf bound_ctrl:1// 000000003AE0: 28D6D6FA FF09186F
	s_waitcnt lgkmcnt(0)                                       // 000000003AE8: BF8CC07F
	v_max3_f32 v48, v64, v65, v48                              // 000000003AEC: D1D30030 04C28340
	v_max3_f32 v48, v66, v67, v48                              // 000000003AF4: D1D30030 04C28742
	v_max3_f32 v48, v68, v69, v48                              // 000000003AFC: D1D30030 04C28B44
	v_max3_f32 v48, v70, v71, v48                              // 000000003B04: D1D30030 04C28F46
	v_max3_f32 v48, v72, v73, v48                              // 000000003B0C: D1D30030 04C29348
	v_max3_f32 v48, v74, v75, v48                              // 000000003B14: D1D30030 04C2974A
	v_max3_f32 v48, v76, v77, v48                              // 000000003B1C: D1D30030 04C29B4C
	v_max3_f32 v48, v78, v79, v48                              // 000000003B24: D1D30030 04C29F4E
	buffer_load_dwordx4 a[96:99], v34, s[20:23], 0 offen       // 000000003B2C: E05C1000 80856022
	v_cmp_eq_u32_e64 s[40:41], v52, v14                        // 000000003B34: D0CA0028 00021D34
	s_nop 1                                                    // 000000003B3C: BF800001
	v_mov_b32_dpp v38, v48 row_ror:8 row_mask:0xf bank_mask:0xf// 000000003B40: 7E4C02FA FF012830
	v_max_f32_e32 v48, v48, v38                                // 000000003B48: 16604D30
	v_max_f32_e32 v15, v48, v14                                // 000000003B4C: 161E1D30
	v_mul_f32_e32 v50, s64, v15                                // 000000003B50: 0A641E40
	v_fma_f32 v88, v88, s64, -v50                              // 000000003B54: D1CB0058 84C88158
	v_fma_f32 v89, v89, s64, -v50                              // 000000003B5C: D1CB0059 84C88159
	v_fma_f32 v90, v90, s64, -v50                              // 000000003B64: D1CB005A 84C8815A
	v_fma_f32 v91, v91, s64, -v50                              // 000000003B6C: D1CB005B 84C8815B
	v_fma_f32 v92, v92, s64, -v50                              // 000000003B74: D1CB005C 84C8815C
	v_fma_f32 v93, v93, s64, -v50                              // 000000003B7C: D1CB005D 84C8815D
	v_fma_f32 v94, v94, s64, -v50                              // 000000003B84: D1CB005E 84C8815E
	v_fma_f32 v95, v95, s64, -v50                              // 000000003B8C: D1CB005F 84C8815F
	buffer_load_dwordx4 a[100:103], v35, s[20:23], 0 offen     // 000000003B94: E05C1000 80856423
	v_exp_f32_e32 v88, v88                                     // 000000003B9C: 7EB04158
	v_exp_f32_e32 v89, v89                                     // 000000003BA0: 7EB24159
	v_exp_f32_e32 v90, v90                                     // 000000003BA4: 7EB4415A
	v_exp_f32_e32 v91, v91                                     // 000000003BA8: 7EB6415B
	v_exp_f32_e32 v92, v92                                     // 000000003BAC: 7EB8415C
	v_exp_f32_e32 v93, v93                                     // 000000003BB0: 7EBA415D
	v_exp_f32_e32 v94, v94                                     // 000000003BB4: 7EBC415E
	v_exp_f32_e32 v95, v95                                     // 000000003BB8: 7EBE415F
	buffer_load_dwordx4 a[104:107], v36, s[20:23], 0 offen     // 000000003BBC: E05C1000 80856824
	v_mul_f32_dpp v116, v126, v88 quad_perm:[0,0,0,0] row_mask:0xf bank_mask:0xf// 000000003BC4: 0AE8B0FA FF00007E
	v_mul_f32_dpp v117, v126, v89 quad_perm:[1,1,1,1] row_mask:0xf bank_mask:0xf// 000000003BCC: 0AEAB2FA FF00557E
	v_mul_f32_dpp v118, v126, v90 quad_perm:[2,2,2,2] row_mask:0xf bank_mask:0xf// 000000003BD4: 0AECB4FA FF00AA7E
	v_mul_f32_dpp v119, v126, v91 quad_perm:[3,3,3,3] row_mask:0xf bank_mask:0xf// 000000003BDC: 0AEEB6FA FF00FF7E
	v_mul_f32_dpp v120, v127, v92 quad_perm:[0,0,0,0] row_mask:0xf bank_mask:0xf// 000000003BE4: 0AF0B8FA FF00007F
	v_mul_f32_dpp v121, v127, v93 quad_perm:[1,1,1,1] row_mask:0xf bank_mask:0xf// 000000003BEC: 0AF2BAFA FF00557F
	v_mul_f32_dpp v122, v127, v94 quad_perm:[2,2,2,2] row_mask:0xf bank_mask:0xf// 000000003BF4: 0AF4BCFA FF00AA7F
	v_mul_f32_dpp v123, v127, v95 quad_perm:[3,3,3,3] row_mask:0xf bank_mask:0xf// 000000003BFC: 0AF6BEFA FF00FF7F
	v_mov_b32_e32 v48, 0x358637bd                              // 000000003C04: 7E6002FF 358637BD
	v_max3_f32 v48, |v116|, |v117|, v48                        // 000000003C0C: D1D30330 04C2EB74
	v_max3_f32 v48, |v118|, |v119|, v48                        // 000000003C14: D1D30330 04C2EF76
	v_max3_f32 v48, |v120|, |v121|, v48                        // 000000003C1C: D1D30330 04C2F378
	v_max3_f32 v48, |v122|, |v123|, v48                        // 000000003C24: D1D30330 04C2F77A
	buffer_load_dwordx4 a[108:111], v37, s[20:23], 0 offen     // 000000003C2C: E05C1000 80856C25
	ds_write_b32 v11, v48 offset:5248                          // 000000003C34: D81A1480 0000300B
	v_sub_f32_e32 v49, v14, v15                                // 000000003C3C: 04621F0E
	v_cndmask_b32_e64 v49, v49, 0, s[40:41]                    // 000000003C40: D1000031 00A10131
	v_mov_b32_e32 v14, v15                                     // 000000003C48: 7E1C030F
	v_mul_f32_e32 v49, s64, v49                                // 000000003C4C: 0A626240
	v_exp_f32_e32 v49, v49                                     // 000000003C50: 7E624131
	s_waitcnt lgkmcnt(0)                                       // 000000003C54: BF8CC07F
	s_barrier                                                  // 000000003C58: BF8A0000
	ds_read_b32 v64, v10 offset:5248                           // 000000003C5C: D86C1480 4000000A
	ds_read_b32 v65, v10 offset:5312                           // 000000003C64: D86C14C0 4100000A
	ds_read_b32 v66, v10 offset:5376                           // 000000003C6C: D86C1500 4200000A
	ds_read_b32 v67, v10 offset:5440                           // 000000003C74: D86C1540 4300000A
	ds_read_b32 v68, v10 offset:5504                           // 000000003C7C: D86C1580 4400000A
	ds_read_b32 v69, v10 offset:5568                           // 000000003C84: D86C15C0 4500000A
	ds_read_b32 v70, v10 offset:5632                           // 000000003C8C: D86C1600 4600000A
	ds_read_b32 v71, v10 offset:5696                           // 000000003C94: D86C1640 4700000A
	ds_read_b32 v72, v10 offset:5760                           // 000000003C9C: D86C1680 4800000A
	ds_read_b32 v73, v10 offset:5824                           // 000000003CA4: D86C16C0 4900000A
	ds_read_b32 v74, v10 offset:5888                           // 000000003CAC: D86C1700 4A00000A
	ds_read_b32 v75, v10 offset:5952                           // 000000003CB4: D86C1740 4B00000A
	ds_read_b32 v76, v10 offset:6016                           // 000000003CBC: D86C1780 4C00000A
	ds_read_b32 v77, v10 offset:6080                           // 000000003CC4: D86C17C0 4D00000A
	ds_read_b32 v78, v10 offset:6144                           // 000000003CCC: D86C1800 4E00000A
	ds_read_b32 v79, v10 offset:6208                           // 000000003CD4: D86C1840 4F00000A
	v_mul_f32_e32 v42, v49, v42                                // 000000003CDC: 0A545531
	v_mov_b32_e32 v43, v88                                     // 000000003CE0: 7E560358
	v_add_f32_e32 v43, v89, v43                                // 000000003CE4: 02565759
	v_add_f32_e32 v43, v90, v43                                // 000000003CE8: 0256575A
	v_add_f32_e32 v43, v91, v43                                // 000000003CEC: 0256575B
	v_add_f32_e32 v43, v92, v43                                // 000000003CF0: 0256575C
	v_add_f32_e32 v43, v93, v43                                // 000000003CF4: 0256575D
	v_add_f32_e32 v43, v94, v43                                // 000000003CF8: 0256575E
	v_add_f32_e32 v43, v95, v43                                // 000000003CFC: 0256575F
	v_add_f32_e32 v42, v43, v42                                // 000000003D00: 0254552B
	s_waitcnt lgkmcnt(0)                                       // 000000003D04: BF8CC07F
	v_max3_f32 v48, |v64|, |v65|, v48                          // 000000003D08: D1D30330 04C28340
	v_max3_f32 v48, |v66|, |v67|, v48                          // 000000003D10: D1D30330 04C28742
	v_max3_f32 v48, |v68|, |v69|, v48                          // 000000003D18: D1D30330 04C28B44
	v_max3_f32 v48, |v70|, |v71|, v48                          // 000000003D20: D1D30330 04C28F46
	v_max3_f32 v48, |v72|, |v73|, v48                          // 000000003D28: D1D30330 04C29348
	v_max3_f32 v48, |v74|, |v75|, v48                          // 000000003D30: D1D30330 04C2974A
	v_max3_f32 v48, |v76|, |v77|, v48                          // 000000003D38: D1D30330 04C29B4C
	v_max3_f32 v48, |v78|, |v79|, v48                          // 000000003D40: D1D30330 04C29F4E
	s_nop 2                                                    // 000000003D48: BF800002
	v_mov_b32_dpp v38, v48 row_ror:8 row_mask:0xf bank_mask:0xf// 000000003D4C: 7E4C02FA FF012830
	v_max_f32_e32 v48, v48, v38                                // 000000003D54: 16604D30
	v_rcp_f32_e32 v48, v48                                     // 000000003D58: 7E604530
	s_nop 1                                                    // 000000003D5C: BF800001
	v_mul_f32_e32 v48, 0x43700000, v48                         // 000000003D60: 0A6060FF 43700000
	v_mul_f32_e32 v88, v48, v116                               // 000000003D68: 0AB0E930
	v_mul_f32_e32 v89, v48, v117                               // 000000003D6C: 0AB2EB30
	v_mul_f32_e32 v90, v48, v118                               // 000000003D70: 0AB4ED30
	v_mul_f32_e32 v91, v48, v119                               // 000000003D74: 0AB6EF30
	v_mul_f32_e32 v92, v48, v120                               // 000000003D78: 0AB8F130
	v_mul_f32_e32 v93, v48, v121                               // 000000003D7C: 0ABAF330
	v_mul_f32_e32 v94, v48, v122                               // 000000003D80: 0ABCF530
	v_mul_f32_e32 v95, v48, v123                               // 000000003D84: 0ABEF730
	v_cvt_pk_fp8_f32 v88, v88, v89                             // 000000003D88: D2A20058 0002B358
	v_cvt_pk_fp8_f32 v88, v90, v91 op_sel:[0,0,1]              // 000000003D90: D2A24058 0002B75A
	v_cvt_pk_fp8_f32 v89, v92, v93                             // 000000003D98: D2A20059 0002BB5C
	v_cvt_pk_fp8_f32 v89, v94, v95 op_sel:[0,0,1]              // 000000003DA0: D2A24059 0002BF5E
	ds_write_b32 v13, v88 offset:6272                          // 000000003DA8: D81A1880 0000580D
	ds_write_b32 v13, v89 offset:7296                          // 000000003DB0: D81A1C80 0000590D
	v_mul_f32_e32 v104, v47, v104                              // 000000003DB8: 0AD0D12F
	v_mul_f32_e32 v105, v47, v105                              // 000000003DBC: 0AD2D32F
	v_mul_f32_e32 v106, v47, v106                              // 000000003DC0: 0AD4D52F
	v_mul_f32_e32 v107, v47, v107                              // 000000003DC4: 0AD6D72F
	v_rcp_f32_e32 v47, v48                                     // 000000003DC8: 7E5E4530
	s_waitcnt lgkmcnt(0)                                       // 000000003DCC: BF8CC07F
	s_barrier                                                  // 000000003DD0: BF8A0000
	ds_read_b64 v[88:89], v12 offset:6272                      // 000000003DD4: D8EC1880 5800000C
	ds_read_b64 v[90:91], v12 offset:6400                      // 000000003DDC: D8EC1900 5A00000C
	ds_read_b64 v[92:93], v12 offset:7296                      // 000000003DE4: D8EC1C80 5C00000C
	ds_read_b64 v[94:95], v12 offset:7424                      // 000000003DEC: D8EC1D00 5E00000C
	v_add_f32_e32 v112, v112, v104                             // 000000003DF4: 02E0D170
	v_add_f32_e32 v113, v113, v105                             // 000000003DF8: 02E2D371
	v_add_f32_e32 v114, v114, v106                             // 000000003DFC: 02E4D572
	v_add_f32_e32 v115, v115, v107                             // 000000003E00: 02E6D773
	s_waitcnt lgkmcnt(3)                                       // 000000003E04: BF8CC37F
	v_mov_b32_dpp v96, v88 row_shl:8 row_mask:0xf bank_mask:0xf bound_ctrl:1// 000000003E08: 7EC002FA FF090858
	v_and_b32_e32 v88, v88, v9                                 // 000000003E10: 26B01358
	v_mov_b32_dpp v97, v89 row_shl:8 row_mask:0xf bank_mask:0xf bound_ctrl:1// 000000003E14: 7EC202FA FF090859
	v_and_b32_e32 v89, v89, v9                                 // 000000003E1C: 26B21359
	s_waitcnt lgkmcnt(2)                                       // 000000003E20: BF8CC27F
	v_mov_b32_dpp v98, v90 row_shl:8 row_mask:0xf bank_mask:0xf bound_ctrl:1// 000000003E24: 7EC402FA FF09085A
	v_and_b32_e32 v90, v90, v9                                 // 000000003E2C: 26B4135A
	v_mov_b32_dpp v99, v91 row_shl:8 row_mask:0xf bank_mask:0xf bound_ctrl:1// 000000003E30: 7EC602FA FF09085B
	v_and_b32_e32 v91, v91, v9                                 // 000000003E38: 26B6135B
	s_waitcnt lgkmcnt(1)                                       // 000000003E3C: BF8CC17F
	v_mov_b32_dpp v100, v92 row_shl:8 row_mask:0xf bank_mask:0xf bound_ctrl:1// 000000003E40: 7EC802FA FF09085C
	v_and_b32_e32 v92, v92, v9                                 // 000000003E48: 26B8135C
	v_mov_b32_dpp v101, v93 row_shl:8 row_mask:0xf bank_mask:0xf bound_ctrl:1// 000000003E4C: 7ECA02FA FF09085D
	v_and_b32_e32 v93, v93, v9                                 // 000000003E54: 26BA135D
	s_waitcnt lgkmcnt(0)                                       // 000000003E58: BF8CC07F
	v_mov_b32_dpp v102, v94 row_shl:8 row_mask:0xf bank_mask:0xf bound_ctrl:1// 000000003E5C: 7ECC02FA FF09085E
	v_and_b32_e32 v94, v94, v9                                 // 000000003E64: 26BC135E
	v_mov_b32_dpp v103, v95 row_shl:8 row_mask:0xf bank_mask:0xf bound_ctrl:1// 000000003E68: 7ECE02FA FF09085F
	v_and_b32_e32 v95, v95, v9                                 // 000000003E70: 26BE135F
	s_waitcnt vmcnt(15)                                        // 000000003E74: BF8C0F7F
	v_mfma_f32_16x16x32_fp8_fp8 v[104:107], a[64:65], v[88:89], 0// 000000003E78: D3F30068 0A02B140
	buffer_load_dwordx4 a[112:115], v34, s[20:23], 0 offen offset:1024// 000000003E80: E05C1400 80857022
	v_mfma_f32_16x16x32_fp8_fp8 v[104:107], a[66:67], v[90:91], v[104:107]// 000000003E88: D3F30068 0DA2B542
	v_mfma_f32_16x16x32_fp8_fp8 v[104:107], a[68:69], v[92:93], v[104:107]// 000000003E90: D3F30068 0DA2B944
	v_mfma_f32_16x16x32_fp8_fp8 v[104:107], a[70:71], v[94:95], v[104:107]// 000000003E98: D3F30068 0DA2BD46
	v_mfma_f32_16x16x32_fp8_fp8 v[104:107], a[72:73], v[96:97], v[104:107]// 000000003EA0: D3F30068 0DA2C148
	buffer_load_dwordx4 a[116:119], v35, s[20:23], 0 offen offset:1024// 000000003EA8: E05C1400 80857423
	v_mfma_f32_16x16x32_fp8_fp8 v[104:107], a[74:75], v[98:99], v[104:107]// 000000003EB0: D3F30068 0DA2C54A
	v_mfma_f32_16x16x32_fp8_fp8 v[104:107], a[76:77], v[100:101], v[104:107]// 000000003EB8: D3F30068 0DA2C94C
	v_mfma_f32_16x16x32_fp8_fp8 v[104:107], a[78:79], v[102:103], v[104:107]// 000000003EC0: D3F30068 0DA2CD4E
	v_mfma_f32_16x16x32_fp8_fp8 v[108:111], a[80:81], v[88:89], 0// 000000003EC8: D3F3006C 0A02B150
	buffer_load_dwordx4 a[120:123], v36, s[20:23], 0 offen offset:1024// 000000003ED0: E05C1400 80857824
	v_mfma_f32_16x16x32_fp8_fp8 v[108:111], a[82:83], v[90:91], v[108:111]// 000000003ED8: D3F3006C 0DB2B552
	v_mfma_f32_16x16x32_fp8_fp8 v[108:111], a[84:85], v[92:93], v[108:111]// 000000003EE0: D3F3006C 0DB2B954
	v_mfma_f32_16x16x32_fp8_fp8 v[108:111], a[86:87], v[94:95], v[108:111]// 000000003EE8: D3F3006C 0DB2BD56
	v_mfma_f32_16x16x32_fp8_fp8 v[108:111], a[88:89], v[96:97], v[108:111]// 000000003EF0: D3F3006C 0DB2C158
	buffer_load_dwordx4 a[124:127], v37, s[20:23], 0 offen offset:1024// 000000003EF8: E05C1400 80857C25
	v_mfma_f32_16x16x32_fp8_fp8 v[108:111], a[90:91], v[98:99], v[108:111]// 000000003F00: D3F3006C 0DB2C55A
	v_mfma_f32_16x16x32_fp8_fp8 v[108:111], a[92:93], v[100:101], v[108:111]// 000000003F08: D3F3006C 0DB2C95C
	s_lshr_b32 s57, s70, 4                                     // 000000003F10: 8F398446
	s_add_u32 s57, 48, s57                                     // 000000003F14: 803939B0
	v_mfma_f32_16x16x32_fp8_fp8 v[108:111], a[94:95], v[102:103], v[108:111]// 000000003F18: D3F3006C 0DB2CD5E
	s_cmp_ge_u32 s57, s73                                      // 000000003F20: BF094939
	s_cselect_b32 s56, 0, s56                                  // 000000003F24: 85383880
	v_add_u32_e32 v1, s56, v1                                  // 000000003F28: 68020238
	s_addk_i32 s70, 0x100                                      // 000000003F2C: B7460100
	s_cmp_lt_i32 s70, s71                                      // 000000003F30: BF044746
	s_cbranch_scc0 label_05B1                                  // 000000003F34: BF84FE23
	s_waitcnt vmcnt(8) lgkmcnt(0)                              // 000000003F38: BF8C0078
	v_mul_u32_u24_dpp v38, v16, v51 row_newbcast:0 row_mask:0xf bank_mask:0xf// 000000003F3C: 104C66FA FF015010
	v_mul_u32_u24_dpp v39, v16, v51 row_newbcast:4 row_mask:0xf bank_mask:0xf// 000000003F44: 104E66FA FF015410
	v_mul_u32_u24_dpp v40, v16, v51 row_newbcast:8 row_mask:0xf bank_mask:0xf// 000000003F4C: 105066FA FF015810
	v_mul_u32_u24_dpp v41, v16, v51 row_newbcast:12 row_mask:0xf bank_mask:0xf// 000000003F54: 105266FA FF015C10
	v_add_u32_e32 v22, v38, v6                                 // 000000003F5C: 682C0D26
	v_add_u32_e32 v23, v39, v6                                 // 000000003F60: 682E0D27
	v_add_u32_e32 v24, v40, v6                                 // 000000003F64: 68300D28
	v_add_u32_e32 v25, v41, v6                                 // 000000003F68: 68320D29
	v_mul_u32_u24_dpp v38, v16, v61 quad_perm:[0,0,0,0] row_mask:0xf bank_mask:0xf// 000000003F6C: 104C7AFA FF000010
	v_add_u32_e32 v2, v38, v57                                 // 000000003F74: 68047326
	v_mul_u32_u24_dpp v38, v16, v61 quad_perm:[0,0,0,0] row_mask:0xf bank_mask:0xf// 000000003F78: 104C7AFA FF000010
	v_add_u32_e32 v53, v38, v58                                // 000000003F80: 686A7526
	v_mfma_f32_16x16x32_fp8_fp8 v[88:91], a[32:33], v[80:81], 0// 000000003F84: D3F30058 0A02A120
	buffer_load_dwordx4 a[0:3], v22, s[16:19], 0 offen         // 000000003F8C: E05C1000 80840016
	v_mfma_f32_16x16x32_fp8_fp8 v[88:91], a[34:35], v[82:83], v[88:91]// 000000003F94: D3F30058 0D62A522
	v_mfma_f32_16x16x32_fp8_fp8 v[88:91], a[36:37], v[84:85], v[88:91]// 000000003F9C: D3F30058 0D62A924
	buffer_load_dword v17, v1, s[24:27], 0 offen               // 000000003FA4: E0501000 80061101
	v_mfma_f32_16x16x32_fp8_fp8 v[88:91], a[38:39], v[86:87], v[88:91]// 000000003FAC: D3F30058 0D62AD26
	v_mfma_f32_16x16x32_fp8_fp8 v[92:95], a[40:41], v[80:81], 0// 000000003FB4: D3F3005C 0A02A128
	buffer_load_dwordx4 a[4:7], v22, s[16:19], 0 offen offset:1024// 000000003FBC: E05C1400 80840416
	v_mfma_f32_16x16x32_fp8_fp8 v[92:95], a[42:43], v[82:83], v[92:95]// 000000003FC4: D3F3005C 0D72A52A
	v_mfma_f32_16x16x32_fp8_fp8 v[92:95], a[44:45], v[84:85], v[92:95]// 000000003FCC: D3F3005C 0D72A92C
	v_mfma_f32_16x16x32_fp8_fp8 v[92:95], a[46:47], v[86:87], v[92:95]// 000000003FD4: D3F3005C 0D72AD2E
	v_mfma_f32_16x16x32_fp8_fp8 v[96:99], a[48:49], v[80:81], 0// 000000003FDC: D3F30060 0A02A130
	buffer_load_dwordx4 a[8:11], v23, s[16:19], 0 offen        // 000000003FE4: E05C1000 80840817
	v_mfma_f32_16x16x32_fp8_fp8 v[96:99], a[50:51], v[82:83], v[96:99]// 000000003FEC: D3F30060 0D82A532
	v_mfma_f32_16x16x32_fp8_fp8 v[96:99], a[52:53], v[84:85], v[96:99]// 000000003FF4: D3F30060 0D82A934
	v_mfma_f32_16x16x32_fp8_fp8 v[96:99], a[54:55], v[86:87], v[96:99]// 000000003FFC: D3F30060 0D82AD36
	v_mfma_f32_16x16x32_fp8_fp8 v[100:103], a[56:57], v[80:81], 0// 000000004004: D3F30064 0A02A138
	buffer_load_dwordx4 a[12:15], v23, s[16:19], 0 offen offset:1024// 00000000400C: E05C1400 80840C17
	v_mfma_f32_16x16x32_fp8_fp8 v[100:103], a[58:59], v[82:83], v[100:103]// 000000004014: D3F30064 0D92A53A
	v_mfma_f32_16x16x32_fp8_fp8 v[100:103], a[60:61], v[84:85], v[100:103]// 00000000401C: D3F30064 0D92A93C
	v_mfma_f32_16x16x32_fp8_fp8 v[100:103], a[62:63], v[86:87], v[100:103]// 000000004024: D3F30064 0D92AD3E
	buffer_load_dword v44, v2, s[32:35], 0 offen               // 00000000402C: E0501000 80082C02
	v_mov_b32_dpp v38, v45 row_shr:4 row_mask:0xf bank_mask:0xf// 000000004034: 7E4C02FA FF01142D
	v_mov_b32_dpp v39, v45 row_shl:4 row_mask:0xf bank_mask:0xf// 00000000403C: 7E4E02FA FF01042D
	v_cndmask_b32_e64 v124, v45, v38, s[44:45]                 // 000000004044: D100007C 00B24D2D
	v_cndmask_b32_e64 v125, v39, v45, s[44:45]                 // 00000000404C: D100007D 00B25B27
	v_mov_b32_dpp v38, v56 row_shr:4 row_mask:0xf bank_mask:0xf// 000000004054: 7E4C02FA FF011438
	v_mov_b32_dpp v39, v56 row_shl:4 row_mask:0xf bank_mask:0xf// 00000000405C: 7E4E02FA FF010438
	v_cndmask_b32_e64 v126, v56, v38, s[44:45]                 // 000000004064: D100007E 00B24D38
	v_cndmask_b32_e64 v127, v39, v56, s[44:45]                 // 00000000406C: D100007F 00B27127
	v_or_b32_dpp v88, v96, v88 row_shr:8 row_mask:0xf bank_mask:0xf bound_ctrl:1// 000000004074: 28B0B0FA FF091860
	v_or_b32_dpp v89, v97, v89 row_shr:8 row_mask:0xf bank_mask:0xf bound_ctrl:1// 00000000407C: 28B2B2FA FF091861
	v_or_b32_dpp v90, v98, v90 row_shr:8 row_mask:0xf bank_mask:0xf bound_ctrl:1// 000000004084: 28B4B4FA FF091862
	v_or_b32_dpp v91, v99, v91 row_shr:8 row_mask:0xf bank_mask:0xf bound_ctrl:1// 00000000408C: 28B6B6FA FF091863
	v_or_b32_dpp v92, v100, v92 row_shr:8 row_mask:0xf bank_mask:0xf bound_ctrl:1// 000000004094: 28B8B8FA FF091864
	v_or_b32_dpp v93, v101, v93 row_shr:8 row_mask:0xf bank_mask:0xf bound_ctrl:1// 00000000409C: 28BABAFA FF091865
	v_or_b32_dpp v94, v102, v94 row_shr:8 row_mask:0xf bank_mask:0xf bound_ctrl:1// 0000000040A4: 28BCBCFA FF091866
	v_or_b32_dpp v95, v103, v95 row_shr:8 row_mask:0xf bank_mask:0xf bound_ctrl:1// 0000000040AC: 28BEBEFA FF091867
	buffer_load_dword v55, v53, s[36:39], 0 offen              // 0000000040B4: E0501000 80093735
	v_mul_f32_e32 v88, v46, v88                                // 0000000040BC: 0AB0B12E
	v_mul_f32_e32 v89, v46, v89                                // 0000000040C0: 0AB2B32E
	v_mul_f32_e32 v90, v46, v90                                // 0000000040C4: 0AB4B52E
	v_mul_f32_e32 v91, v46, v91                                // 0000000040C8: 0AB6B72E
	v_mul_f32_e32 v92, v46, v92                                // 0000000040CC: 0AB8B92E
	v_mul_f32_e32 v93, v46, v93                                // 0000000040D0: 0ABABB2E
	v_mul_f32_e32 v94, v46, v94                                // 0000000040D4: 0ABCBD2E
	v_mul_f32_e32 v95, v46, v95                                // 0000000040D8: 0ABEBF2E
	buffer_load_dwordx4 a[16:19], v24, s[16:19], 0 offen       // 0000000040DC: E05C1000 80841018
	v_mul_f32_dpp v88, v124, v88 quad_perm:[0,0,0,0] row_mask:0xf bank_mask:0xf// 0000000040E4: 0AB0B0FA FF00007C
	v_mul_f32_dpp v89, v124, v89 quad_perm:[1,1,1,1] row_mask:0xf bank_mask:0xf// 0000000040EC: 0AB2B2FA FF00557C
	v_mul_f32_dpp v90, v124, v90 quad_perm:[2,2,2,2] row_mask:0xf bank_mask:0xf// 0000000040F4: 0AB4B4FA FF00AA7C
	v_mul_f32_dpp v91, v124, v91 quad_perm:[3,3,3,3] row_mask:0xf bank_mask:0xf// 0000000040FC: 0AB6B6FA FF00FF7C
	v_mul_f32_dpp v92, v125, v92 quad_perm:[0,0,0,0] row_mask:0xf bank_mask:0xf// 000000004104: 0AB8B8FA FF00007D
	v_mul_f32_dpp v93, v125, v93 quad_perm:[1,1,1,1] row_mask:0xf bank_mask:0xf// 00000000410C: 0ABABAFA FF00557D
	v_mul_f32_dpp v94, v125, v94 quad_perm:[2,2,2,2] row_mask:0xf bank_mask:0xf// 000000004114: 0ABCBCFA FF00AA7D
	v_mul_f32_dpp v95, v125, v95 quad_perm:[3,3,3,3] row_mask:0xf bank_mask:0xf// 00000000411C: 0ABEBEFA FF00FF7D
	buffer_load_dwordx4 a[20:23], v24, s[16:19], 0 offen offset:1024// 000000004124: E05C1400 80841418
	v_mov_b32_e32 v48, v88                                     // 00000000412C: 7E600358
	v_max3_f32 v48, v88, v89, v48                              // 000000004130: D1D30030 04C2B358
	v_max3_f32 v48, v90, v91, v48                              // 000000004138: D1D30030 04C2B75A
	v_max3_f32 v48, v92, v93, v48                              // 000000004140: D1D30030 04C2BB5C
	v_max3_f32 v48, v94, v95, v48                              // 000000004148: D1D30030 04C2BF5E
	ds_write_b32 v11, v48 offset:4224                          // 000000004150: D81A1080 0000300B
	buffer_load_dwordx4 a[24:27], v25, s[16:19], 0 offen       // 000000004158: E05C1000 80841819
	v_mul_u32_u24_dpp v38, v16, v51 row_newbcast:1 row_mask:0xf bank_mask:0xf// 000000004160: 104C66FA FF015110
	v_mul_u32_u24_dpp v39, v16, v51 row_newbcast:5 row_mask:0xf bank_mask:0xf// 000000004168: 104E66FA FF015510
	v_mul_u32_u24_dpp v40, v16, v51 row_newbcast:9 row_mask:0xf bank_mask:0xf// 000000004170: 105066FA FF015910
	v_mul_u32_u24_dpp v41, v16, v51 row_newbcast:13 row_mask:0xf bank_mask:0xf// 000000004178: 105266FA FF015D10
	v_add_u32_e32 v30, v38, v7                                 // 000000004180: 683C0F26
	v_add_u32_e32 v31, v39, v7                                 // 000000004184: 683E0F27
	v_add_u32_e32 v32, v40, v7                                 // 000000004188: 68400F28
	v_add_u32_e32 v33, v41, v7                                 // 00000000418C: 68420F29
	s_waitcnt lgkmcnt(0)                                       // 000000004190: BF8CC07F
	s_barrier                                                  // 000000004194: BF8A0000
	ds_read_b32 v64, v10 offset:4224                           // 000000004198: D86C1080 4000000A
	ds_read_b32 v65, v10 offset:4288                           // 0000000041A0: D86C10C0 4100000A
	ds_read_b32 v66, v10 offset:4352                           // 0000000041A8: D86C1100 4200000A
	ds_read_b32 v67, v10 offset:4416                           // 0000000041B0: D86C1140 4300000A
	ds_read_b32 v68, v10 offset:4480                           // 0000000041B8: D86C1180 4400000A
	ds_read_b32 v69, v10 offset:4544                           // 0000000041C0: D86C11C0 4500000A
	ds_read_b32 v70, v10 offset:4608                           // 0000000041C8: D86C1200 4600000A
	ds_read_b32 v71, v10 offset:4672                           // 0000000041D0: D86C1240 4700000A
	ds_read_b32 v72, v10 offset:4736                           // 0000000041D8: D86C1280 4800000A
	ds_read_b32 v73, v10 offset:4800                           // 0000000041E0: D86C12C0 4900000A
	ds_read_b32 v74, v10 offset:4864                           // 0000000041E8: D86C1300 4A00000A
	ds_read_b32 v75, v10 offset:4928                           // 0000000041F0: D86C1340 4B00000A
	ds_read_b32 v76, v10 offset:4992                           // 0000000041F8: D86C1380 4C00000A
	ds_read_b32 v77, v10 offset:5056                           // 000000004200: D86C13C0 4D00000A
	ds_read_b32 v78, v10 offset:5120                           // 000000004208: D86C1400 4E00000A
	ds_read_b32 v79, v10 offset:5184                           // 000000004210: D86C1440 4F00000A
	buffer_load_dwordx4 a[28:31], v25, s[16:19], 0 offen offset:1024// 000000004218: E05C1400 80841C19
	v_mul_f32_e32 v112, v49, v112                              // 000000004220: 0AE0E131
	v_mul_f32_e32 v113, v49, v113                              // 000000004224: 0AE2E331
	v_mul_f32_e32 v114, v49, v114                              // 000000004228: 0AE4E531
	v_mul_f32_e32 v115, v49, v115                              // 00000000422C: 0AE6E731
	v_or_b32_dpp v104, v108, v104 row_shr:8 row_mask:0xf bank_mask:0xf bound_ctrl:1// 000000004230: 28D0D0FA FF09186C
	v_or_b32_dpp v105, v109, v105 row_shr:8 row_mask:0xf bank_mask:0xf bound_ctrl:1// 000000004238: 28D2D2FA FF09186D
	v_or_b32_dpp v106, v110, v106 row_shr:8 row_mask:0xf bank_mask:0xf bound_ctrl:1// 000000004240: 28D4D4FA FF09186E
	v_or_b32_dpp v107, v111, v107 row_shr:8 row_mask:0xf bank_mask:0xf bound_ctrl:1// 000000004248: 28D6D6FA FF09186F
	s_waitcnt lgkmcnt(0)                                       // 000000004250: BF8CC07F
	v_max3_f32 v48, v64, v65, v48                              // 000000004254: D1D30030 04C28340
	v_max3_f32 v48, v66, v67, v48                              // 00000000425C: D1D30030 04C28742
	v_max3_f32 v48, v68, v69, v48                              // 000000004264: D1D30030 04C28B44
	v_max3_f32 v48, v70, v71, v48                              // 00000000426C: D1D30030 04C28F46
	v_max3_f32 v48, v72, v73, v48                              // 000000004274: D1D30030 04C29348
	v_max3_f32 v48, v74, v75, v48                              // 00000000427C: D1D30030 04C2974A
	v_max3_f32 v48, v76, v77, v48                              // 000000004284: D1D30030 04C29B4C
	v_max3_f32 v48, v78, v79, v48                              // 00000000428C: D1D30030 04C29F4E
	buffer_load_dwordx4 a[64:67], v30, s[20:23], 0 offen       // 000000004294: E05C1000 8085401E
	v_cmp_eq_u32_e64 s[40:41], v52, v14                        // 00000000429C: D0CA0028 00021D34
	s_nop 1                                                    // 0000000042A4: BF800001
	v_mov_b32_dpp v38, v48 row_ror:8 row_mask:0xf bank_mask:0xf// 0000000042A8: 7E4C02FA FF012830
	v_max_f32_e32 v48, v48, v38                                // 0000000042B0: 16604D30
	v_max_f32_e32 v15, v48, v14                                // 0000000042B4: 161E1D30
	v_mul_f32_e32 v50, s64, v15                                // 0000000042B8: 0A641E40
	v_fma_f32 v88, v88, s64, -v50                              // 0000000042BC: D1CB0058 84C88158
	v_fma_f32 v89, v89, s64, -v50                              // 0000000042C4: D1CB0059 84C88159
	v_fma_f32 v90, v90, s64, -v50                              // 0000000042CC: D1CB005A 84C8815A
	v_fma_f32 v91, v91, s64, -v50                              // 0000000042D4: D1CB005B 84C8815B
	v_fma_f32 v92, v92, s64, -v50                              // 0000000042DC: D1CB005C 84C8815C
	v_fma_f32 v93, v93, s64, -v50                              // 0000000042E4: D1CB005D 84C8815D
	v_fma_f32 v94, v94, s64, -v50                              // 0000000042EC: D1CB005E 84C8815E
	v_fma_f32 v95, v95, s64, -v50                              // 0000000042F4: D1CB005F 84C8815F
	buffer_load_dwordx4 a[68:71], v31, s[20:23], 0 offen       // 0000000042FC: E05C1000 8085441F
	v_exp_f32_e32 v88, v88                                     // 000000004304: 7EB04158
	v_exp_f32_e32 v89, v89                                     // 000000004308: 7EB24159
	v_exp_f32_e32 v90, v90                                     // 00000000430C: 7EB4415A
	v_exp_f32_e32 v91, v91                                     // 000000004310: 7EB6415B
	v_exp_f32_e32 v92, v92                                     // 000000004314: 7EB8415C
	v_exp_f32_e32 v93, v93                                     // 000000004318: 7EBA415D
	v_exp_f32_e32 v94, v94                                     // 00000000431C: 7EBC415E
	v_exp_f32_e32 v95, v95                                     // 000000004320: 7EBE415F
	buffer_load_dwordx4 a[72:75], v32, s[20:23], 0 offen       // 000000004324: E05C1000 80854820
	v_mul_f32_dpp v116, v126, v88 quad_perm:[0,0,0,0] row_mask:0xf bank_mask:0xf// 00000000432C: 0AE8B0FA FF00007E
	v_mul_f32_dpp v117, v126, v89 quad_perm:[1,1,1,1] row_mask:0xf bank_mask:0xf// 000000004334: 0AEAB2FA FF00557E
	v_mul_f32_dpp v118, v126, v90 quad_perm:[2,2,2,2] row_mask:0xf bank_mask:0xf// 00000000433C: 0AECB4FA FF00AA7E
	v_mul_f32_dpp v119, v126, v91 quad_perm:[3,3,3,3] row_mask:0xf bank_mask:0xf// 000000004344: 0AEEB6FA FF00FF7E
	v_mul_f32_dpp v120, v127, v92 quad_perm:[0,0,0,0] row_mask:0xf bank_mask:0xf// 00000000434C: 0AF0B8FA FF00007F
	v_mul_f32_dpp v121, v127, v93 quad_perm:[1,1,1,1] row_mask:0xf bank_mask:0xf// 000000004354: 0AF2BAFA FF00557F
	v_mul_f32_dpp v122, v127, v94 quad_perm:[2,2,2,2] row_mask:0xf bank_mask:0xf// 00000000435C: 0AF4BCFA FF00AA7F
	v_mul_f32_dpp v123, v127, v95 quad_perm:[3,3,3,3] row_mask:0xf bank_mask:0xf// 000000004364: 0AF6BEFA FF00FF7F
	v_mov_b32_e32 v48, 0x358637bd                              // 00000000436C: 7E6002FF 358637BD
	v_max3_f32 v48, |v116|, |v117|, v48                        // 000000004374: D1D30330 04C2EB74
	v_max3_f32 v48, |v118|, |v119|, v48                        // 00000000437C: D1D30330 04C2EF76
	v_max3_f32 v48, |v120|, |v121|, v48                        // 000000004384: D1D30330 04C2F378
	v_max3_f32 v48, |v122|, |v123|, v48                        // 00000000438C: D1D30330 04C2F77A
	buffer_load_dwordx4 a[76:79], v33, s[20:23], 0 offen       // 000000004394: E05C1000 80854C21
	ds_write_b32 v11, v48 offset:5248                          // 00000000439C: D81A1480 0000300B
	v_sub_f32_e32 v49, v14, v15                                // 0000000043A4: 04621F0E
	v_cndmask_b32_e64 v49, v49, 0, s[40:41]                    // 0000000043A8: D1000031 00A10131
	v_mov_b32_e32 v14, v15                                     // 0000000043B0: 7E1C030F
	v_mul_f32_e32 v49, s64, v49                                // 0000000043B4: 0A626240
	v_exp_f32_e32 v49, v49                                     // 0000000043B8: 7E624131
	s_waitcnt lgkmcnt(0)                                       // 0000000043BC: BF8CC07F
	s_barrier                                                  // 0000000043C0: BF8A0000
	ds_read_b32 v64, v10 offset:5248                           // 0000000043C4: D86C1480 4000000A
	ds_read_b32 v65, v10 offset:5312                           // 0000000043CC: D86C14C0 4100000A
	ds_read_b32 v66, v10 offset:5376                           // 0000000043D4: D86C1500 4200000A
	ds_read_b32 v67, v10 offset:5440                           // 0000000043DC: D86C1540 4300000A
	ds_read_b32 v68, v10 offset:5504                           // 0000000043E4: D86C1580 4400000A
	ds_read_b32 v69, v10 offset:5568                           // 0000000043EC: D86C15C0 4500000A
	ds_read_b32 v70, v10 offset:5632                           // 0000000043F4: D86C1600 4600000A
	ds_read_b32 v71, v10 offset:5696                           // 0000000043FC: D86C1640 4700000A
	ds_read_b32 v72, v10 offset:5760                           // 000000004404: D86C1680 4800000A
	ds_read_b32 v73, v10 offset:5824                           // 00000000440C: D86C16C0 4900000A
	ds_read_b32 v74, v10 offset:5888                           // 000000004414: D86C1700 4A00000A
	ds_read_b32 v75, v10 offset:5952                           // 00000000441C: D86C1740 4B00000A
	ds_read_b32 v76, v10 offset:6016                           // 000000004424: D86C1780 4C00000A
	ds_read_b32 v77, v10 offset:6080                           // 00000000442C: D86C17C0 4D00000A
	ds_read_b32 v78, v10 offset:6144                           // 000000004434: D86C1800 4E00000A
	ds_read_b32 v79, v10 offset:6208                           // 00000000443C: D86C1840 4F00000A
	v_mul_f32_e32 v42, v49, v42                                // 000000004444: 0A545531
	v_mov_b32_e32 v43, v88                                     // 000000004448: 7E560358
	v_add_f32_e32 v43, v89, v43                                // 00000000444C: 02565759
	v_add_f32_e32 v43, v90, v43                                // 000000004450: 0256575A
	v_add_f32_e32 v43, v91, v43                                // 000000004454: 0256575B
	v_add_f32_e32 v43, v92, v43                                // 000000004458: 0256575C
	v_add_f32_e32 v43, v93, v43                                // 00000000445C: 0256575D
	v_add_f32_e32 v43, v94, v43                                // 000000004460: 0256575E
	v_add_f32_e32 v43, v95, v43                                // 000000004464: 0256575F
	v_add_f32_e32 v42, v43, v42                                // 000000004468: 0254552B
	s_waitcnt lgkmcnt(0)                                       // 00000000446C: BF8CC07F
	v_max3_f32 v48, |v64|, |v65|, v48                          // 000000004470: D1D30330 04C28340
	v_max3_f32 v48, |v66|, |v67|, v48                          // 000000004478: D1D30330 04C28742
	v_max3_f32 v48, |v68|, |v69|, v48                          // 000000004480: D1D30330 04C28B44
	v_max3_f32 v48, |v70|, |v71|, v48                          // 000000004488: D1D30330 04C28F46
	v_max3_f32 v48, |v72|, |v73|, v48                          // 000000004490: D1D30330 04C29348
	v_max3_f32 v48, |v74|, |v75|, v48                          // 000000004498: D1D30330 04C2974A
	v_max3_f32 v48, |v76|, |v77|, v48                          // 0000000044A0: D1D30330 04C29B4C
	v_max3_f32 v48, |v78|, |v79|, v48                          // 0000000044A8: D1D30330 04C29F4E
	s_nop 2                                                    // 0000000044B0: BF800002
	v_mov_b32_dpp v38, v48 row_ror:8 row_mask:0xf bank_mask:0xf// 0000000044B4: 7E4C02FA FF012830
	v_max_f32_e32 v48, v48, v38                                // 0000000044BC: 16604D30
	v_rcp_f32_e32 v48, v48                                     // 0000000044C0: 7E604530
	s_nop 1                                                    // 0000000044C4: BF800001
	v_mul_f32_e32 v48, 0x43700000, v48                         // 0000000044C8: 0A6060FF 43700000
	v_mul_f32_e32 v88, v48, v116                               // 0000000044D0: 0AB0E930
	v_mul_f32_e32 v89, v48, v117                               // 0000000044D4: 0AB2EB30
	v_mul_f32_e32 v90, v48, v118                               // 0000000044D8: 0AB4ED30
	v_mul_f32_e32 v91, v48, v119                               // 0000000044DC: 0AB6EF30
	v_mul_f32_e32 v92, v48, v120                               // 0000000044E0: 0AB8F130
	v_mul_f32_e32 v93, v48, v121                               // 0000000044E4: 0ABAF330
	v_mul_f32_e32 v94, v48, v122                               // 0000000044E8: 0ABCF530
	v_mul_f32_e32 v95, v48, v123                               // 0000000044EC: 0ABEF730
	v_cvt_pk_fp8_f32 v88, v88, v89                             // 0000000044F0: D2A20058 0002B358
	v_cvt_pk_fp8_f32 v88, v90, v91 op_sel:[0,0,1]              // 0000000044F8: D2A24058 0002B75A
	v_cvt_pk_fp8_f32 v89, v92, v93                             // 000000004500: D2A20059 0002BB5C
	v_cvt_pk_fp8_f32 v89, v94, v95 op_sel:[0,0,1]              // 000000004508: D2A24059 0002BF5E
	ds_write_b32 v13, v88 offset:6272                          // 000000004510: D81A1880 0000580D
	ds_write_b32 v13, v89 offset:7296                          // 000000004518: D81A1C80 0000590D
	v_mul_f32_e32 v104, v47, v104                              // 000000004520: 0AD0D12F
	v_mul_f32_e32 v105, v47, v105                              // 000000004524: 0AD2D32F
	v_mul_f32_e32 v106, v47, v106                              // 000000004528: 0AD4D52F
	v_mul_f32_e32 v107, v47, v107                              // 00000000452C: 0AD6D72F
	v_rcp_f32_e32 v47, v48                                     // 000000004530: 7E5E4530
	s_waitcnt lgkmcnt(0)                                       // 000000004534: BF8CC07F
	s_barrier                                                  // 000000004538: BF8A0000
	ds_read_b64 v[88:89], v12 offset:6272                      // 00000000453C: D8EC1880 5800000C
	ds_read_b64 v[90:91], v12 offset:6400                      // 000000004544: D8EC1900 5A00000C
	ds_read_b64 v[92:93], v12 offset:7296                      // 00000000454C: D8EC1C80 5C00000C
	ds_read_b64 v[94:95], v12 offset:7424                      // 000000004554: D8EC1D00 5E00000C
	v_add_f32_e32 v112, v112, v104                             // 00000000455C: 02E0D170
	v_add_f32_e32 v113, v113, v105                             // 000000004560: 02E2D371
	v_add_f32_e32 v114, v114, v106                             // 000000004564: 02E4D572
	v_add_f32_e32 v115, v115, v107                             // 000000004568: 02E6D773
	s_waitcnt lgkmcnt(3)                                       // 00000000456C: BF8CC37F
	v_mov_b32_dpp v96, v88 row_shl:8 row_mask:0xf bank_mask:0xf bound_ctrl:1// 000000004570: 7EC002FA FF090858
	v_and_b32_e32 v88, v88, v9                                 // 000000004578: 26B01358
	v_mov_b32_dpp v97, v89 row_shl:8 row_mask:0xf bank_mask:0xf bound_ctrl:1// 00000000457C: 7EC202FA FF090859
	v_and_b32_e32 v89, v89, v9                                 // 000000004584: 26B21359
	s_waitcnt lgkmcnt(2)                                       // 000000004588: BF8CC27F
	v_mov_b32_dpp v98, v90 row_shl:8 row_mask:0xf bank_mask:0xf bound_ctrl:1// 00000000458C: 7EC402FA FF09085A
	v_and_b32_e32 v90, v90, v9                                 // 000000004594: 26B4135A
	v_mov_b32_dpp v99, v91 row_shl:8 row_mask:0xf bank_mask:0xf bound_ctrl:1// 000000004598: 7EC602FA FF09085B
	v_and_b32_e32 v91, v91, v9                                 // 0000000045A0: 26B6135B
	s_waitcnt lgkmcnt(1)                                       // 0000000045A4: BF8CC17F
	v_mov_b32_dpp v100, v92 row_shl:8 row_mask:0xf bank_mask:0xf bound_ctrl:1// 0000000045A8: 7EC802FA FF09085C
	v_and_b32_e32 v92, v92, v9                                 // 0000000045B0: 26B8135C
	v_mov_b32_dpp v101, v93 row_shl:8 row_mask:0xf bank_mask:0xf bound_ctrl:1// 0000000045B4: 7ECA02FA FF09085D
	v_and_b32_e32 v93, v93, v9                                 // 0000000045BC: 26BA135D
	s_waitcnt lgkmcnt(0)                                       // 0000000045C0: BF8CC07F
	v_mov_b32_dpp v102, v94 row_shl:8 row_mask:0xf bank_mask:0xf bound_ctrl:1// 0000000045C4: 7ECC02FA FF09085E
	v_and_b32_e32 v94, v94, v9                                 // 0000000045CC: 26BC135E
	v_mov_b32_dpp v103, v95 row_shl:8 row_mask:0xf bank_mask:0xf bound_ctrl:1// 0000000045D0: 7ECE02FA FF09085F
	v_and_b32_e32 v95, v95, v9                                 // 0000000045D8: 26BE135F
	s_waitcnt vmcnt(15)                                        // 0000000045DC: BF8C0F7F
	v_mfma_f32_16x16x32_fp8_fp8 v[104:107], a[96:97], v[88:89], 0// 0000000045E0: D3F30068 0A02B160
	buffer_load_dwordx4 a[80:83], v30, s[20:23], 0 offen offset:1024// 0000000045E8: E05C1400 8085501E
	v_mfma_f32_16x16x32_fp8_fp8 v[104:107], a[98:99], v[90:91], v[104:107]// 0000000045F0: D3F30068 0DA2B562
	v_mfma_f32_16x16x32_fp8_fp8 v[104:107], a[100:101], v[92:93], v[104:107]// 0000000045F8: D3F30068 0DA2B964
	v_mfma_f32_16x16x32_fp8_fp8 v[104:107], a[102:103], v[94:95], v[104:107]// 000000004600: D3F30068 0DA2BD66
	v_mfma_f32_16x16x32_fp8_fp8 v[104:107], a[104:105], v[96:97], v[104:107]// 000000004608: D3F30068 0DA2C168
	buffer_load_dwordx4 a[84:87], v31, s[20:23], 0 offen offset:1024// 000000004610: E05C1400 8085541F
	v_mfma_f32_16x16x32_fp8_fp8 v[104:107], a[106:107], v[98:99], v[104:107]// 000000004618: D3F30068 0DA2C56A
	v_mfma_f32_16x16x32_fp8_fp8 v[104:107], a[108:109], v[100:101], v[104:107]// 000000004620: D3F30068 0DA2C96C
	v_mfma_f32_16x16x32_fp8_fp8 v[104:107], a[110:111], v[102:103], v[104:107]// 000000004628: D3F30068 0DA2CD6E
	v_mfma_f32_16x16x32_fp8_fp8 v[108:111], a[112:113], v[88:89], 0// 000000004630: D3F3006C 0A02B170
	buffer_load_dwordx4 a[88:91], v32, s[20:23], 0 offen offset:1024// 000000004638: E05C1400 80855820
	v_mfma_f32_16x16x32_fp8_fp8 v[108:111], a[114:115], v[90:91], v[108:111]// 000000004640: D3F3006C 0DB2B572
	v_mfma_f32_16x16x32_fp8_fp8 v[108:111], a[116:117], v[92:93], v[108:111]// 000000004648: D3F3006C 0DB2B974
	v_mfma_f32_16x16x32_fp8_fp8 v[108:111], a[118:119], v[94:95], v[108:111]// 000000004650: D3F3006C 0DB2BD76
	v_mfma_f32_16x16x32_fp8_fp8 v[108:111], a[120:121], v[96:97], v[108:111]// 000000004658: D3F3006C 0DB2C178
	buffer_load_dwordx4 a[92:95], v33, s[20:23], 0 offen offset:1024// 000000004660: E05C1400 80855C21
	v_mfma_f32_16x16x32_fp8_fp8 v[108:111], a[122:123], v[98:99], v[108:111]// 000000004668: D3F3006C 0DB2C57A
	v_mfma_f32_16x16x32_fp8_fp8 v[108:111], a[124:125], v[100:101], v[108:111]// 000000004670: D3F3006C 0DB2C97C
	s_lshr_b32 s57, s70, 4                                     // 000000004678: 8F398446
	s_add_u32 s57, 48, s57                                     // 00000000467C: 803939B0
	v_mfma_f32_16x16x32_fp8_fp8 v[108:111], a[126:127], v[102:103], v[108:111]// 000000004680: D3F3006C 0DB2CD7E
	s_cmp_ge_u32 s57, s73                                      // 000000004688: BF094939
	s_cselect_b32 s56, 0, s56                                  // 00000000468C: 85383880
	v_add_u32_e32 v1, s56, v1                                  // 000000004690: 68020238
	s_addk_i32 s70, 0x100                                      // 000000004694: B7460100
	s_cmp_lt_i32 s70, s71                                      // 000000004698: BF044746
	s_cbranch_scc0 label_05B1                                  // 00000000469C: BF84FC49
	s_branch label_05B4                                        // 0000000046A0: BF82FC4B

00000000000046a4 <label_0969>:
	s_lshr_b32 s60, s71, 4                                     // 0000000046A4: 8F3C8447
	s_cmp_eq_i32 s60, s73                                      // 0000000046A8: BF00493C
	s_cbranch_scc1 label_0D2A                                  // 0000000046AC: BF8503BE
	s_lshr_b32 s60, s71, 8                                     // 0000000046B0: 8F3C8847
	s_and_b32 s60, s60, 1                                      // 0000000046B4: 863C813C
	s_cmp_eq_i32 s60, 1                                        // 0000000046B8: BF00813C
	s_cbranch_scc1 label_0B4D                                  // 0000000046BC: BF8501DD
	s_waitcnt vmcnt(8) lgkmcnt(0)                              // 0000000046C0: BF8C0078
	s_barrier                                                  // 0000000046C4: BF8A0000
	v_mfma_f32_16x16x32_fp8_fp8 v[88:91], a[0:1], v[80:81], 0  // 0000000046C8: D3F30058 0A02A100
	v_mfma_f32_16x16x32_fp8_fp8 v[88:91], a[2:3], v[82:83], v[88:91]// 0000000046D0: D3F30058 0D62A502
	v_mfma_f32_16x16x32_fp8_fp8 v[88:91], a[4:5], v[84:85], v[88:91]// 0000000046D8: D3F30058 0D62A904
	v_mfma_f32_16x16x32_fp8_fp8 v[88:91], a[6:7], v[86:87], v[88:91]// 0000000046E0: D3F30058 0D62AD06
	v_mfma_f32_16x16x32_fp8_fp8 v[92:95], a[8:9], v[80:81], 0  // 0000000046E8: D3F3005C 0A02A108
	v_mfma_f32_16x16x32_fp8_fp8 v[92:95], a[10:11], v[82:83], v[92:95]// 0000000046F0: D3F3005C 0D72A50A
	v_mfma_f32_16x16x32_fp8_fp8 v[92:95], a[12:13], v[84:85], v[92:95]// 0000000046F8: D3F3005C 0D72A90C
	v_mfma_f32_16x16x32_fp8_fp8 v[92:95], a[14:15], v[86:87], v[92:95]// 000000004700: D3F3005C 0D72AD0E
	v_mfma_f32_16x16x32_fp8_fp8 v[96:99], a[16:17], v[80:81], 0// 000000004708: D3F30060 0A02A110
	v_mfma_f32_16x16x32_fp8_fp8 v[96:99], a[18:19], v[82:83], v[96:99]// 000000004710: D3F30060 0D82A512
	v_mfma_f32_16x16x32_fp8_fp8 v[96:99], a[20:21], v[84:85], v[96:99]// 000000004718: D3F30060 0D82A914
	v_mfma_f32_16x16x32_fp8_fp8 v[96:99], a[22:23], v[86:87], v[96:99]// 000000004720: D3F30060 0D82AD16
	v_mfma_f32_16x16x32_fp8_fp8 v[100:103], a[24:25], v[80:81], 0// 000000004728: D3F30064 0A02A118
	v_mfma_f32_16x16x32_fp8_fp8 v[100:103], a[26:27], v[82:83], v[100:103]// 000000004730: D3F30064 0D92A51A
	v_mfma_f32_16x16x32_fp8_fp8 v[100:103], a[28:29], v[84:85], v[100:103]// 000000004738: D3F30064 0D92A91C
	v_mfma_f32_16x16x32_fp8_fp8 v[100:103], a[30:31], v[86:87], v[100:103]// 000000004740: D3F30064 0D92AD1E
	v_mov_b32_dpp v38, v44 row_shr:4 row_mask:0xf bank_mask:0xf// 000000004748: 7E4C02FA FF01142C
	v_mov_b32_dpp v39, v44 row_shl:4 row_mask:0xf bank_mask:0xf// 000000004750: 7E4E02FA FF01042C
	v_cndmask_b32_e64 v124, v44, v38, s[44:45]                 // 000000004758: D100007C 00B24D2C
	v_cndmask_b32_e64 v125, v39, v44, s[44:45]                 // 000000004760: D100007D 00B25927
	v_mov_b32_dpp v38, v55 row_shr:4 row_mask:0xf bank_mask:0xf// 000000004768: 7E4C02FA FF011437
	v_mov_b32_dpp v39, v55 row_shl:4 row_mask:0xf bank_mask:0xf// 000000004770: 7E4E02FA FF010437
	v_cndmask_b32_e64 v126, v55, v38, s[44:45]                 // 000000004778: D100007E 00B24D37
	v_cndmask_b32_e64 v127, v39, v55, s[44:45]                 // 000000004780: D100007F 00B26F27
	v_or_b32_dpp v88, v96, v88 row_shr:8 row_mask:0xf bank_mask:0xf bound_ctrl:1// 000000004788: 28B0B0FA FF091860
	v_or_b32_dpp v89, v97, v89 row_shr:8 row_mask:0xf bank_mask:0xf bound_ctrl:1// 000000004790: 28B2B2FA FF091861
	v_or_b32_dpp v90, v98, v90 row_shr:8 row_mask:0xf bank_mask:0xf bound_ctrl:1// 000000004798: 28B4B4FA FF091862
	v_or_b32_dpp v91, v99, v91 row_shr:8 row_mask:0xf bank_mask:0xf bound_ctrl:1// 0000000047A0: 28B6B6FA FF091863
	v_or_b32_dpp v92, v100, v92 row_shr:8 row_mask:0xf bank_mask:0xf bound_ctrl:1// 0000000047A8: 28B8B8FA FF091864
	v_or_b32_dpp v93, v101, v93 row_shr:8 row_mask:0xf bank_mask:0xf bound_ctrl:1// 0000000047B0: 28BABAFA FF091865
	v_or_b32_dpp v94, v102, v94 row_shr:8 row_mask:0xf bank_mask:0xf bound_ctrl:1// 0000000047B8: 28BCBCFA FF091866
	v_or_b32_dpp v95, v103, v95 row_shr:8 row_mask:0xf bank_mask:0xf bound_ctrl:1// 0000000047C0: 28BEBEFA FF091867
	v_mul_f32_e32 v88, v46, v88                                // 0000000047C8: 0AB0B12E
	v_mul_f32_e32 v89, v46, v89                                // 0000000047CC: 0AB2B32E
	v_mul_f32_e32 v90, v46, v90                                // 0000000047D0: 0AB4B52E
	v_mul_f32_e32 v91, v46, v91                                // 0000000047D4: 0AB6B72E
	v_mul_f32_e32 v92, v46, v92                                // 0000000047D8: 0AB8B92E
	v_mul_f32_e32 v93, v46, v93                                // 0000000047DC: 0ABABB2E
	v_mul_f32_e32 v94, v46, v94                                // 0000000047E0: 0ABCBD2E
	v_mul_f32_e32 v95, v46, v95                                // 0000000047E4: 0ABEBF2E
	v_mul_f32_dpp v88, v124, v88 quad_perm:[0,0,0,0] row_mask:0xf bank_mask:0xf// 0000000047E8: 0AB0B0FA FF00007C
	v_mul_f32_dpp v89, v124, v89 quad_perm:[1,1,1,1] row_mask:0xf bank_mask:0xf// 0000000047F0: 0AB2B2FA FF00557C
	v_mul_f32_dpp v90, v124, v90 quad_perm:[2,2,2,2] row_mask:0xf bank_mask:0xf// 0000000047F8: 0AB4B4FA FF00AA7C
	v_mul_f32_dpp v91, v124, v91 quad_perm:[3,3,3,3] row_mask:0xf bank_mask:0xf// 000000004800: 0AB6B6FA FF00FF7C
	v_mul_f32_dpp v92, v125, v92 quad_perm:[0,0,0,0] row_mask:0xf bank_mask:0xf// 000000004808: 0AB8B8FA FF00007D
	v_mul_f32_dpp v93, v125, v93 quad_perm:[1,1,1,1] row_mask:0xf bank_mask:0xf// 000000004810: 0ABABAFA FF00557D
	v_mul_f32_dpp v94, v125, v94 quad_perm:[2,2,2,2] row_mask:0xf bank_mask:0xf// 000000004818: 0ABCBCFA FF00AA7D
	v_mul_f32_dpp v95, v125, v95 quad_perm:[3,3,3,3] row_mask:0xf bank_mask:0xf// 000000004820: 0ABEBEFA FF00FF7D
	s_and_b32 s60, s72, 0xff                                   // 000000004828: 863CFF48 000000FF
	v_mov_b32_e32 v62, s60                                     // 000000004830: 7E7C023C
	v_lshrrev_b32_e32 v116, 4, v0                              // 000000004834: 20E80084
	v_mul_i32_i24_e32 v116, 4, v116                            // 000000004838: 0CE8E884
	v_and_b32_e32 v38, 15, v0                                  // 00000000483C: 264C008F
	v_lshrrev_b32_e32 v38, 3, v38                              // 000000004840: 204C4C83
	v_mul_i32_i24_e32 v38, 0x80, v38                           // 000000004844: 0C4C4CFF 00000080
	v_add_u32_e32 v116, v38, v116                              // 00000000484C: 68E8E926
	s_mul_i32 s60, s7, 16                                      // 000000004850: 923C9007
	v_add_u32_e32 v116, s60, v116                              // 000000004854: 68E8E83C
	v_add_u32_e32 v117, 1, v116                                // 000000004858: 68EAE881
	v_add_u32_e32 v118, 2, v116                                // 00000000485C: 68ECE882
	v_add_u32_e32 v119, 3, v116                                // 000000004860: 68EEE883
	v_cmp_lt_u32_e64 s[40:41], v116, v62                       // 000000004864: D0C90028 00027D74
	v_add_u32_e32 v116, 64, v116                               // 00000000486C: 68E8E8C0
	s_nop 0                                                    // 000000004870: BF800000
	v_cndmask_b32_e64 v88, v52, v88, s[40:41]                  // 000000004874: D1000058 00A2B134
	v_cmp_lt_u32_e64 s[40:41], v117, v62                       // 00000000487C: D0C90028 00027D75
	v_add_u32_e32 v117, 64, v117                               // 000000004884: 68EAEAC0
	s_nop 0                                                    // 000000004888: BF800000
	v_cndmask_b32_e64 v89, v52, v89, s[40:41]                  // 00000000488C: D1000059 00A2B334
	v_cmp_lt_u32_e64 s[40:41], v118, v62                       // 000000004894: D0C90028 00027D76
	v_add_u32_e32 v118, 64, v118                               // 00000000489C: 68ECECC0
	s_nop 0                                                    // 0000000048A0: BF800000
	v_cndmask_b32_e64 v90, v52, v90, s[40:41]                  // 0000000048A4: D100005A 00A2B534
	v_cmp_lt_u32_e64 s[40:41], v119, v62                       // 0000000048AC: D0C90028 00027D77
	v_add_u32_e32 v119, 64, v119                               // 0000000048B4: 68EEEEC0
	s_nop 0                                                    // 0000000048B8: BF800000
	v_cndmask_b32_e64 v91, v52, v91, s[40:41]                  // 0000000048BC: D100005B 00A2B734
	v_cmp_lt_u32_e64 s[40:41], v116, v62                       // 0000000048C4: D0C90028 00027D74
	v_add_u32_e32 v116, 64, v116                               // 0000000048CC: 68E8E8C0
	s_nop 0                                                    // 0000000048D0: BF800000
	v_cndmask_b32_e64 v92, v52, v92, s[40:41]                  // 0000000048D4: D100005C 00A2B934
	v_cmp_lt_u32_e64 s[40:41], v117, v62                       // 0000000048DC: D0C90028 00027D75
	v_add_u32_e32 v117, 64, v117                               // 0000000048E4: 68EAEAC0
	s_nop 0                                                    // 0000000048E8: BF800000
	v_cndmask_b32_e64 v93, v52, v93, s[40:41]                  // 0000000048EC: D100005D 00A2BB34
	v_cmp_lt_u32_e64 s[40:41], v118, v62                       // 0000000048F4: D0C90028 00027D76
	v_add_u32_e32 v118, 64, v118                               // 0000000048FC: 68ECECC0
	s_nop 0                                                    // 000000004900: BF800000
	v_cndmask_b32_e64 v94, v52, v94, s[40:41]                  // 000000004904: D100005E 00A2BD34
	v_cmp_lt_u32_e64 s[40:41], v119, v62                       // 00000000490C: D0C90028 00027D77
	v_add_u32_e32 v119, 64, v119                               // 000000004914: 68EEEEC0
	s_nop 0                                                    // 000000004918: BF800000
	v_cndmask_b32_e64 v95, v52, v95, s[40:41]                  // 00000000491C: D100005F 00A2BF34
	v_mov_b32_e32 v48, v88                                     // 000000004924: 7E600358
	v_max3_f32 v48, v88, v89, v48                              // 000000004928: D1D30030 04C2B358
	v_max3_f32 v48, v90, v91, v48                              // 000000004930: D1D30030 04C2B75A
	v_max3_f32 v48, v92, v93, v48                              // 000000004938: D1D30030 04C2BB5C
	v_max3_f32 v48, v94, v95, v48                              // 000000004940: D1D30030 04C2BF5E
	ds_write_b32 v11, v48 offset:4224                          // 000000004948: D81A1080 0000300B
	v_mul_u32_u24_dpp v38, v17, v51 row_newbcast:1 row_mask:0xf bank_mask:0xf// 000000004950: 104C66FA FF015111
	v_mul_u32_u24_dpp v39, v17, v51 row_newbcast:5 row_mask:0xf bank_mask:0xf// 000000004958: 104E66FA FF015511
	v_mul_u32_u24_dpp v40, v17, v51 row_newbcast:9 row_mask:0xf bank_mask:0xf// 000000004960: 105066FA FF015911
	v_mul_u32_u24_dpp v41, v17, v51 row_newbcast:13 row_mask:0xf bank_mask:0xf// 000000004968: 105266FA FF015D11
	v_add_u32_e32 v34, v38, v7                                 // 000000004970: 68440F26
	v_add_u32_e32 v35, v39, v7                                 // 000000004974: 68460F27
	v_add_u32_e32 v36, v40, v7                                 // 000000004978: 68480F28
	v_add_u32_e32 v37, v41, v7                                 // 00000000497C: 684A0F29
	s_waitcnt lgkmcnt(0)                                       // 000000004980: BF8CC07F
	s_barrier                                                  // 000000004984: BF8A0000
	ds_read_b32 v64, v10 offset:4224                           // 000000004988: D86C1080 4000000A
	ds_read_b32 v65, v10 offset:4288                           // 000000004990: D86C10C0 4100000A
	ds_read_b32 v66, v10 offset:4352                           // 000000004998: D86C1100 4200000A
	ds_read_b32 v67, v10 offset:4416                           // 0000000049A0: D86C1140 4300000A
	ds_read_b32 v68, v10 offset:4480                           // 0000000049A8: D86C1180 4400000A
	ds_read_b32 v69, v10 offset:4544                           // 0000000049B0: D86C11C0 4500000A
	ds_read_b32 v70, v10 offset:4608                           // 0000000049B8: D86C1200 4600000A
	ds_read_b32 v71, v10 offset:4672                           // 0000000049C0: D86C1240 4700000A
	ds_read_b32 v72, v10 offset:4736                           // 0000000049C8: D86C1280 4800000A
	ds_read_b32 v73, v10 offset:4800                           // 0000000049D0: D86C12C0 4900000A
	ds_read_b32 v74, v10 offset:4864                           // 0000000049D8: D86C1300 4A00000A
	ds_read_b32 v75, v10 offset:4928                           // 0000000049E0: D86C1340 4B00000A
	ds_read_b32 v76, v10 offset:4992                           // 0000000049E8: D86C1380 4C00000A
	ds_read_b32 v77, v10 offset:5056                           // 0000000049F0: D86C13C0 4D00000A
	ds_read_b32 v78, v10 offset:5120                           // 0000000049F8: D86C1400 4E00000A
	ds_read_b32 v79, v10 offset:5184                           // 000000004A00: D86C1440 4F00000A
	v_mul_f32_e32 v112, v49, v112                              // 000000004A08: 0AE0E131
	v_mul_f32_e32 v113, v49, v113                              // 000000004A0C: 0AE2E331
	v_mul_f32_e32 v114, v49, v114                              // 000000004A10: 0AE4E531
	v_mul_f32_e32 v115, v49, v115                              // 000000004A14: 0AE6E731
	v_or_b32_dpp v104, v108, v104 row_shr:8 row_mask:0xf bank_mask:0xf bound_ctrl:1// 000000004A18: 28D0D0FA FF09186C
	v_or_b32_dpp v105, v109, v105 row_shr:8 row_mask:0xf bank_mask:0xf bound_ctrl:1// 000000004A20: 28D2D2FA FF09186D
	v_or_b32_dpp v106, v110, v106 row_shr:8 row_mask:0xf bank_mask:0xf bound_ctrl:1// 000000004A28: 28D4D4FA FF09186E
	v_or_b32_dpp v107, v111, v107 row_shr:8 row_mask:0xf bank_mask:0xf bound_ctrl:1// 000000004A30: 28D6D6FA FF09186F
	s_waitcnt lgkmcnt(0)                                       // 000000004A38: BF8CC07F
	v_max3_f32 v48, v64, v65, v48                              // 000000004A3C: D1D30030 04C28340
	v_max3_f32 v48, v66, v67, v48                              // 000000004A44: D1D30030 04C28742
	v_max3_f32 v48, v68, v69, v48                              // 000000004A4C: D1D30030 04C28B44
	v_max3_f32 v48, v70, v71, v48                              // 000000004A54: D1D30030 04C28F46
	v_max3_f32 v48, v72, v73, v48                              // 000000004A5C: D1D30030 04C29348
	v_max3_f32 v48, v74, v75, v48                              // 000000004A64: D1D30030 04C2974A
	v_max3_f32 v48, v76, v77, v48                              // 000000004A6C: D1D30030 04C29B4C
	v_max3_f32 v48, v78, v79, v48                              // 000000004A74: D1D30030 04C29F4E
	v_cmp_eq_u32_e64 s[40:41], v52, v14                        // 000000004A7C: D0CA0028 00021D34
	s_nop 1                                                    // 000000004A84: BF800001
	v_mov_b32_dpp v38, v48 row_ror:8 row_mask:0xf bank_mask:0xf// 000000004A88: 7E4C02FA FF012830
	v_max_f32_e32 v48, v48, v38                                // 000000004A90: 16604D30
	v_max_f32_e32 v15, v48, v14                                // 000000004A94: 161E1D30
	v_mul_f32_e32 v50, s64, v15                                // 000000004A98: 0A641E40
	v_fma_f32 v88, v88, s64, -v50                              // 000000004A9C: D1CB0058 84C88158
	v_fma_f32 v89, v89, s64, -v50                              // 000000004AA4: D1CB0059 84C88159
	v_fma_f32 v90, v90, s64, -v50                              // 000000004AAC: D1CB005A 84C8815A
	v_fma_f32 v91, v91, s64, -v50                              // 000000004AB4: D1CB005B 84C8815B
	v_fma_f32 v92, v92, s64, -v50                              // 000000004ABC: D1CB005C 84C8815C
	v_fma_f32 v93, v93, s64, -v50                              // 000000004AC4: D1CB005D 84C8815D
	v_fma_f32 v94, v94, s64, -v50                              // 000000004ACC: D1CB005E 84C8815E
	v_fma_f32 v95, v95, s64, -v50                              // 000000004AD4: D1CB005F 84C8815F
	v_exp_f32_e32 v88, v88                                     // 000000004ADC: 7EB04158
	v_exp_f32_e32 v89, v89                                     // 000000004AE0: 7EB24159
	v_exp_f32_e32 v90, v90                                     // 000000004AE4: 7EB4415A
	v_exp_f32_e32 v91, v91                                     // 000000004AE8: 7EB6415B
	v_exp_f32_e32 v92, v92                                     // 000000004AEC: 7EB8415C
	v_exp_f32_e32 v93, v93                                     // 000000004AF0: 7EBA415D
	v_exp_f32_e32 v94, v94                                     // 000000004AF4: 7EBC415E
	v_exp_f32_e32 v95, v95                                     // 000000004AF8: 7EBE415F
	v_mul_f32_dpp v116, v126, v88 quad_perm:[0,0,0,0] row_mask:0xf bank_mask:0xf// 000000004AFC: 0AE8B0FA FF00007E
	v_mul_f32_dpp v117, v126, v89 quad_perm:[1,1,1,1] row_mask:0xf bank_mask:0xf// 000000004B04: 0AEAB2FA FF00557E
	v_mul_f32_dpp v118, v126, v90 quad_perm:[2,2,2,2] row_mask:0xf bank_mask:0xf// 000000004B0C: 0AECB4FA FF00AA7E
	v_mul_f32_dpp v119, v126, v91 quad_perm:[3,3,3,3] row_mask:0xf bank_mask:0xf// 000000004B14: 0AEEB6FA FF00FF7E
	v_mul_f32_dpp v120, v127, v92 quad_perm:[0,0,0,0] row_mask:0xf bank_mask:0xf// 000000004B1C: 0AF0B8FA FF00007F
	v_mul_f32_dpp v121, v127, v93 quad_perm:[1,1,1,1] row_mask:0xf bank_mask:0xf// 000000004B24: 0AF2BAFA FF00557F
	v_mul_f32_dpp v122, v127, v94 quad_perm:[2,2,2,2] row_mask:0xf bank_mask:0xf// 000000004B2C: 0AF4BCFA FF00AA7F
	v_mul_f32_dpp v123, v127, v95 quad_perm:[3,3,3,3] row_mask:0xf bank_mask:0xf// 000000004B34: 0AF6BEFA FF00FF7F
	v_mov_b32_e32 v48, 0x358637bd                              // 000000004B3C: 7E6002FF 358637BD
	v_max3_f32 v48, |v116|, |v117|, v48                        // 000000004B44: D1D30330 04C2EB74
	v_max3_f32 v48, |v118|, |v119|, v48                        // 000000004B4C: D1D30330 04C2EF76
	v_max3_f32 v48, |v120|, |v121|, v48                        // 000000004B54: D1D30330 04C2F378
	v_max3_f32 v48, |v122|, |v123|, v48                        // 000000004B5C: D1D30330 04C2F77A
	ds_write_b32 v11, v48 offset:5248                          // 000000004B64: D81A1480 0000300B
	v_sub_f32_e32 v49, v14, v15                                // 000000004B6C: 04621F0E
	v_cndmask_b32_e64 v49, v49, 0, s[40:41]                    // 000000004B70: D1000031 00A10131
	v_mov_b32_e32 v14, v15                                     // 000000004B78: 7E1C030F
	v_mul_f32_e32 v49, s64, v49                                // 000000004B7C: 0A626240
	v_exp_f32_e32 v49, v49                                     // 000000004B80: 7E624131
	s_waitcnt lgkmcnt(0)                                       // 000000004B84: BF8CC07F
	s_barrier                                                  // 000000004B88: BF8A0000
	ds_read_b32 v64, v10 offset:5248                           // 000000004B8C: D86C1480 4000000A
	ds_read_b32 v65, v10 offset:5312                           // 000000004B94: D86C14C0 4100000A
	ds_read_b32 v66, v10 offset:5376                           // 000000004B9C: D86C1500 4200000A
	ds_read_b32 v67, v10 offset:5440                           // 000000004BA4: D86C1540 4300000A
	ds_read_b32 v68, v10 offset:5504                           // 000000004BAC: D86C1580 4400000A
	ds_read_b32 v69, v10 offset:5568                           // 000000004BB4: D86C15C0 4500000A
	ds_read_b32 v70, v10 offset:5632                           // 000000004BBC: D86C1600 4600000A
	ds_read_b32 v71, v10 offset:5696                           // 000000004BC4: D86C1640 4700000A
	ds_read_b32 v72, v10 offset:5760                           // 000000004BCC: D86C1680 4800000A
	ds_read_b32 v73, v10 offset:5824                           // 000000004BD4: D86C16C0 4900000A
	ds_read_b32 v74, v10 offset:5888                           // 000000004BDC: D86C1700 4A00000A
	ds_read_b32 v75, v10 offset:5952                           // 000000004BE4: D86C1740 4B00000A
	ds_read_b32 v76, v10 offset:6016                           // 000000004BEC: D86C1780 4C00000A
	ds_read_b32 v77, v10 offset:6080                           // 000000004BF4: D86C17C0 4D00000A
	ds_read_b32 v78, v10 offset:6144                           // 000000004BFC: D86C1800 4E00000A
	ds_read_b32 v79, v10 offset:6208                           // 000000004C04: D86C1840 4F00000A
	v_mul_f32_e32 v42, v49, v42                                // 000000004C0C: 0A545531
	v_mov_b32_e32 v43, v88                                     // 000000004C10: 7E560358
	v_add_f32_e32 v43, v89, v43                                // 000000004C14: 02565759
	v_add_f32_e32 v43, v90, v43                                // 000000004C18: 0256575A
	v_add_f32_e32 v43, v91, v43                                // 000000004C1C: 0256575B
	v_add_f32_e32 v43, v92, v43                                // 000000004C20: 0256575C
	v_add_f32_e32 v43, v93, v43                                // 000000004C24: 0256575D
	v_add_f32_e32 v43, v94, v43                                // 000000004C28: 0256575E
	v_add_f32_e32 v43, v95, v43                                // 000000004C2C: 0256575F
	v_add_f32_e32 v42, v43, v42                                // 000000004C30: 0254552B
	s_waitcnt lgkmcnt(0)                                       // 000000004C34: BF8CC07F
	v_max3_f32 v48, |v64|, |v65|, v48                          // 000000004C38: D1D30330 04C28340
	v_max3_f32 v48, |v66|, |v67|, v48                          // 000000004C40: D1D30330 04C28742
	v_max3_f32 v48, |v68|, |v69|, v48                          // 000000004C48: D1D30330 04C28B44
	v_max3_f32 v48, |v70|, |v71|, v48                          // 000000004C50: D1D30330 04C28F46
	v_max3_f32 v48, |v72|, |v73|, v48                          // 000000004C58: D1D30330 04C29348
	v_max3_f32 v48, |v74|, |v75|, v48                          // 000000004C60: D1D30330 04C2974A
	v_max3_f32 v48, |v76|, |v77|, v48                          // 000000004C68: D1D30330 04C29B4C
	v_max3_f32 v48, |v78|, |v79|, v48                          // 000000004C70: D1D30330 04C29F4E
	s_nop 2                                                    // 000000004C78: BF800002
	v_mov_b32_dpp v38, v48 row_ror:8 row_mask:0xf bank_mask:0xf// 000000004C7C: 7E4C02FA FF012830
	v_max_f32_e32 v48, v48, v38                                // 000000004C84: 16604D30
	v_rcp_f32_e32 v48, v48                                     // 000000004C88: 7E604530
	s_nop 1                                                    // 000000004C8C: BF800001
	v_mul_f32_e32 v48, 0x43700000, v48                         // 000000004C90: 0A6060FF 43700000
	v_mul_f32_e32 v88, v48, v116                               // 000000004C98: 0AB0E930
	v_mul_f32_e32 v89, v48, v117                               // 000000004C9C: 0AB2EB30
	v_mul_f32_e32 v90, v48, v118                               // 000000004CA0: 0AB4ED30
	v_mul_f32_e32 v91, v48, v119                               // 000000004CA4: 0AB6EF30
	v_mul_f32_e32 v92, v48, v120                               // 000000004CA8: 0AB8F130
	v_mul_f32_e32 v93, v48, v121                               // 000000004CAC: 0ABAF330
	v_mul_f32_e32 v94, v48, v122                               // 000000004CB0: 0ABCF530
	v_mul_f32_e32 v95, v48, v123                               // 000000004CB4: 0ABEF730
	v_cvt_pk_fp8_f32 v88, v88, v89                             // 000000004CB8: D2A20058 0002B358
	v_cvt_pk_fp8_f32 v88, v90, v91 op_sel:[0,0,1]              // 000000004CC0: D2A24058 0002B75A
	v_cvt_pk_fp8_f32 v89, v92, v93                             // 000000004CC8: D2A20059 0002BB5C
	v_cvt_pk_fp8_f32 v89, v94, v95 op_sel:[0,0,1]              // 000000004CD0: D2A24059 0002BF5E
	ds_write_b32 v13, v88 offset:6272                          // 000000004CD8: D81A1880 0000580D
	ds_write_b32 v13, v89 offset:7296                          // 000000004CE0: D81A1C80 0000590D
	v_mul_f32_e32 v104, v47, v104                              // 000000004CE8: 0AD0D12F
	v_mul_f32_e32 v105, v47, v105                              // 000000004CEC: 0AD2D32F
	v_mul_f32_e32 v106, v47, v106                              // 000000004CF0: 0AD4D52F
	v_mul_f32_e32 v107, v47, v107                              // 000000004CF4: 0AD6D72F
	v_rcp_f32_e32 v47, v48                                     // 000000004CF8: 7E5E4530
	s_waitcnt lgkmcnt(0)                                       // 000000004CFC: BF8CC07F
	s_barrier                                                  // 000000004D00: BF8A0000
	ds_read_b64 v[88:89], v12 offset:6272                      // 000000004D04: D8EC1880 5800000C
	ds_read_b64 v[90:91], v12 offset:6400                      // 000000004D0C: D8EC1900 5A00000C
	ds_read_b64 v[92:93], v12 offset:7296                      // 000000004D14: D8EC1C80 5C00000C
	ds_read_b64 v[94:95], v12 offset:7424                      // 000000004D1C: D8EC1D00 5E00000C
	v_add_f32_e32 v112, v112, v104                             // 000000004D24: 02E0D170
	v_add_f32_e32 v113, v113, v105                             // 000000004D28: 02E2D371
	v_add_f32_e32 v114, v114, v106                             // 000000004D2C: 02E4D572
	v_add_f32_e32 v115, v115, v107                             // 000000004D30: 02E6D773
	s_waitcnt lgkmcnt(3)                                       // 000000004D34: BF8CC37F
	v_mov_b32_dpp v96, v88 row_shl:8 row_mask:0xf bank_mask:0xf bound_ctrl:1// 000000004D38: 7EC002FA FF090858
	v_and_b32_e32 v88, v88, v9                                 // 000000004D40: 26B01358
	v_mov_b32_dpp v97, v89 row_shl:8 row_mask:0xf bank_mask:0xf bound_ctrl:1// 000000004D44: 7EC202FA FF090859
	v_and_b32_e32 v89, v89, v9                                 // 000000004D4C: 26B21359
	s_waitcnt lgkmcnt(2)                                       // 000000004D50: BF8CC27F
	v_mov_b32_dpp v98, v90 row_shl:8 row_mask:0xf bank_mask:0xf bound_ctrl:1// 000000004D54: 7EC402FA FF09085A
	v_and_b32_e32 v90, v90, v9                                 // 000000004D5C: 26B4135A
	v_mov_b32_dpp v99, v91 row_shl:8 row_mask:0xf bank_mask:0xf bound_ctrl:1// 000000004D60: 7EC602FA FF09085B
	v_and_b32_e32 v91, v91, v9                                 // 000000004D68: 26B6135B
	s_waitcnt lgkmcnt(1)                                       // 000000004D6C: BF8CC17F
	v_mov_b32_dpp v100, v92 row_shl:8 row_mask:0xf bank_mask:0xf bound_ctrl:1// 000000004D70: 7EC802FA FF09085C
	v_and_b32_e32 v92, v92, v9                                 // 000000004D78: 26B8135C
	v_mov_b32_dpp v101, v93 row_shl:8 row_mask:0xf bank_mask:0xf bound_ctrl:1// 000000004D7C: 7ECA02FA FF09085D
	v_and_b32_e32 v93, v93, v9                                 // 000000004D84: 26BA135D
	s_waitcnt lgkmcnt(0)                                       // 000000004D88: BF8CC07F
	v_mov_b32_dpp v102, v94 row_shl:8 row_mask:0xf bank_mask:0xf bound_ctrl:1// 000000004D8C: 7ECC02FA FF09085E
	v_and_b32_e32 v94, v94, v9                                 // 000000004D94: 26BC135E
	v_mov_b32_dpp v103, v95 row_shl:8 row_mask:0xf bank_mask:0xf bound_ctrl:1// 000000004D98: 7ECE02FA FF09085F
	v_and_b32_e32 v95, v95, v9                                 // 000000004DA0: 26BE135F
	s_waitcnt vmcnt(0)                                         // 000000004DA4: BF8C0F70
	s_barrier                                                  // 000000004DA8: BF8A0000
	v_mfma_f32_16x16x32_fp8_fp8 v[104:107], a[64:65], v[88:89], 0// 000000004DAC: D3F30068 0A02B140
	v_mfma_f32_16x16x32_fp8_fp8 v[104:107], a[66:67], v[90:91], v[104:107]// 000000004DB4: D3F30068 0DA2B542
	v_mfma_f32_16x16x32_fp8_fp8 v[104:107], a[68:69], v[92:93], v[104:107]// 000000004DBC: D3F30068 0DA2B944
	v_mfma_f32_16x16x32_fp8_fp8 v[104:107], a[70:71], v[94:95], v[104:107]// 000000004DC4: D3F30068 0DA2BD46
	v_mfma_f32_16x16x32_fp8_fp8 v[104:107], a[72:73], v[96:97], v[104:107]// 000000004DCC: D3F30068 0DA2C148
	v_mfma_f32_16x16x32_fp8_fp8 v[104:107], a[74:75], v[98:99], v[104:107]// 000000004DD4: D3F30068 0DA2C54A
	v_mfma_f32_16x16x32_fp8_fp8 v[104:107], a[76:77], v[100:101], v[104:107]// 000000004DDC: D3F30068 0DA2C94C
	v_mfma_f32_16x16x32_fp8_fp8 v[104:107], a[78:79], v[102:103], v[104:107]// 000000004DE4: D3F30068 0DA2CD4E
	v_mfma_f32_16x16x32_fp8_fp8 v[108:111], a[80:81], v[88:89], 0// 000000004DEC: D3F3006C 0A02B150
	v_mfma_f32_16x16x32_fp8_fp8 v[108:111], a[82:83], v[90:91], v[108:111]// 000000004DF4: D3F3006C 0DB2B552
	v_mfma_f32_16x16x32_fp8_fp8 v[108:111], a[84:85], v[92:93], v[108:111]// 000000004DFC: D3F3006C 0DB2B954
	v_mfma_f32_16x16x32_fp8_fp8 v[108:111], a[86:87], v[94:95], v[108:111]// 000000004E04: D3F3006C 0DB2BD56
	v_mfma_f32_16x16x32_fp8_fp8 v[108:111], a[88:89], v[96:97], v[108:111]// 000000004E0C: D3F3006C 0DB2C158
	v_mfma_f32_16x16x32_fp8_fp8 v[108:111], a[90:91], v[98:99], v[108:111]// 000000004E14: D3F3006C 0DB2C55A
	v_mfma_f32_16x16x32_fp8_fp8 v[108:111], a[92:93], v[100:101], v[108:111]// 000000004E1C: D3F3006C 0DB2C95C
	v_mfma_f32_16x16x32_fp8_fp8 v[108:111], a[94:95], v[102:103], v[108:111]// 000000004E24: D3F3006C 0DB2CD5E
	s_nop 4                                                    // 000000004E2C: BF800004
	s_branch label_0D2A                                        // 000000004E30: BF8201DD

0000000000004e34 <label_0B4D>:
	s_waitcnt vmcnt(8) lgkmcnt(0)                              // 000000004E34: BF8C0078
	s_barrier                                                  // 000000004E38: BF8A0000
	v_mfma_f32_16x16x32_fp8_fp8 v[88:91], a[32:33], v[80:81], 0// 000000004E3C: D3F30058 0A02A120
	v_mfma_f32_16x16x32_fp8_fp8 v[88:91], a[34:35], v[82:83], v[88:91]// 000000004E44: D3F30058 0D62A522
	v_mfma_f32_16x16x32_fp8_fp8 v[88:91], a[36:37], v[84:85], v[88:91]// 000000004E4C: D3F30058 0D62A924
	v_mfma_f32_16x16x32_fp8_fp8 v[88:91], a[38:39], v[86:87], v[88:91]// 000000004E54: D3F30058 0D62AD26
	v_mfma_f32_16x16x32_fp8_fp8 v[92:95], a[40:41], v[80:81], 0// 000000004E5C: D3F3005C 0A02A128
	v_mfma_f32_16x16x32_fp8_fp8 v[92:95], a[42:43], v[82:83], v[92:95]// 000000004E64: D3F3005C 0D72A52A
	v_mfma_f32_16x16x32_fp8_fp8 v[92:95], a[44:45], v[84:85], v[92:95]// 000000004E6C: D3F3005C 0D72A92C
	v_mfma_f32_16x16x32_fp8_fp8 v[92:95], a[46:47], v[86:87], v[92:95]// 000000004E74: D3F3005C 0D72AD2E
	v_mfma_f32_16x16x32_fp8_fp8 v[96:99], a[48:49], v[80:81], 0// 000000004E7C: D3F30060 0A02A130
	v_mfma_f32_16x16x32_fp8_fp8 v[96:99], a[50:51], v[82:83], v[96:99]// 000000004E84: D3F30060 0D82A532
	v_mfma_f32_16x16x32_fp8_fp8 v[96:99], a[52:53], v[84:85], v[96:99]// 000000004E8C: D3F30060 0D82A934
	v_mfma_f32_16x16x32_fp8_fp8 v[96:99], a[54:55], v[86:87], v[96:99]// 000000004E94: D3F30060 0D82AD36
	v_mfma_f32_16x16x32_fp8_fp8 v[100:103], a[56:57], v[80:81], 0// 000000004E9C: D3F30064 0A02A138
	v_mfma_f32_16x16x32_fp8_fp8 v[100:103], a[58:59], v[82:83], v[100:103]// 000000004EA4: D3F30064 0D92A53A
	v_mfma_f32_16x16x32_fp8_fp8 v[100:103], a[60:61], v[84:85], v[100:103]// 000000004EAC: D3F30064 0D92A93C
	v_mfma_f32_16x16x32_fp8_fp8 v[100:103], a[62:63], v[86:87], v[100:103]// 000000004EB4: D3F30064 0D92AD3E
	v_mov_b32_dpp v38, v45 row_shr:4 row_mask:0xf bank_mask:0xf// 000000004EBC: 7E4C02FA FF01142D
	v_mov_b32_dpp v39, v45 row_shl:4 row_mask:0xf bank_mask:0xf// 000000004EC4: 7E4E02FA FF01042D
	v_cndmask_b32_e64 v124, v45, v38, s[44:45]                 // 000000004ECC: D100007C 00B24D2D
	v_cndmask_b32_e64 v125, v39, v45, s[44:45]                 // 000000004ED4: D100007D 00B25B27
	v_mov_b32_dpp v38, v56 row_shr:4 row_mask:0xf bank_mask:0xf// 000000004EDC: 7E4C02FA FF011438
	v_mov_b32_dpp v39, v56 row_shl:4 row_mask:0xf bank_mask:0xf// 000000004EE4: 7E4E02FA FF010438
	v_cndmask_b32_e64 v126, v56, v38, s[44:45]                 // 000000004EEC: D100007E 00B24D38
	v_cndmask_b32_e64 v127, v39, v56, s[44:45]                 // 000000004EF4: D100007F 00B27127
	v_or_b32_dpp v88, v96, v88 row_shr:8 row_mask:0xf bank_mask:0xf bound_ctrl:1// 000000004EFC: 28B0B0FA FF091860
	v_or_b32_dpp v89, v97, v89 row_shr:8 row_mask:0xf bank_mask:0xf bound_ctrl:1// 000000004F04: 28B2B2FA FF091861
	v_or_b32_dpp v90, v98, v90 row_shr:8 row_mask:0xf bank_mask:0xf bound_ctrl:1// 000000004F0C: 28B4B4FA FF091862
	v_or_b32_dpp v91, v99, v91 row_shr:8 row_mask:0xf bank_mask:0xf bound_ctrl:1// 000000004F14: 28B6B6FA FF091863
	v_or_b32_dpp v92, v100, v92 row_shr:8 row_mask:0xf bank_mask:0xf bound_ctrl:1// 000000004F1C: 28B8B8FA FF091864
	v_or_b32_dpp v93, v101, v93 row_shr:8 row_mask:0xf bank_mask:0xf bound_ctrl:1// 000000004F24: 28BABAFA FF091865
	v_or_b32_dpp v94, v102, v94 row_shr:8 row_mask:0xf bank_mask:0xf bound_ctrl:1// 000000004F2C: 28BCBCFA FF091866
	v_or_b32_dpp v95, v103, v95 row_shr:8 row_mask:0xf bank_mask:0xf bound_ctrl:1// 000000004F34: 28BEBEFA FF091867
	v_mul_f32_e32 v88, v46, v88                                // 000000004F3C: 0AB0B12E
	v_mul_f32_e32 v89, v46, v89                                // 000000004F40: 0AB2B32E
	v_mul_f32_e32 v90, v46, v90                                // 000000004F44: 0AB4B52E
	v_mul_f32_e32 v91, v46, v91                                // 000000004F48: 0AB6B72E
	v_mul_f32_e32 v92, v46, v92                                // 000000004F4C: 0AB8B92E
	v_mul_f32_e32 v93, v46, v93                                // 000000004F50: 0ABABB2E
	v_mul_f32_e32 v94, v46, v94                                // 000000004F54: 0ABCBD2E
	v_mul_f32_e32 v95, v46, v95                                // 000000004F58: 0ABEBF2E
	v_mul_f32_dpp v88, v124, v88 quad_perm:[0,0,0,0] row_mask:0xf bank_mask:0xf// 000000004F5C: 0AB0B0FA FF00007C
	v_mul_f32_dpp v89, v124, v89 quad_perm:[1,1,1,1] row_mask:0xf bank_mask:0xf// 000000004F64: 0AB2B2FA FF00557C
	v_mul_f32_dpp v90, v124, v90 quad_perm:[2,2,2,2] row_mask:0xf bank_mask:0xf// 000000004F6C: 0AB4B4FA FF00AA7C
	v_mul_f32_dpp v91, v124, v91 quad_perm:[3,3,3,3] row_mask:0xf bank_mask:0xf// 000000004F74: 0AB6B6FA FF00FF7C
	v_mul_f32_dpp v92, v125, v92 quad_perm:[0,0,0,0] row_mask:0xf bank_mask:0xf// 000000004F7C: 0AB8B8FA FF00007D
	v_mul_f32_dpp v93, v125, v93 quad_perm:[1,1,1,1] row_mask:0xf bank_mask:0xf// 000000004F84: 0ABABAFA FF00557D
	v_mul_f32_dpp v94, v125, v94 quad_perm:[2,2,2,2] row_mask:0xf bank_mask:0xf// 000000004F8C: 0ABCBCFA FF00AA7D
	v_mul_f32_dpp v95, v125, v95 quad_perm:[3,3,3,3] row_mask:0xf bank_mask:0xf// 000000004F94: 0ABEBEFA FF00FF7D
	s_and_b32 s60, s72, 0xff                                   // 000000004F9C: 863CFF48 000000FF
	v_mov_b32_e32 v62, s60                                     // 000000004FA4: 7E7C023C
	v_lshrrev_b32_e32 v116, 4, v0                              // 000000004FA8: 20E80084
	v_mul_i32_i24_e32 v116, 4, v116                            // 000000004FAC: 0CE8E884
	v_and_b32_e32 v38, 15, v0                                  // 000000004FB0: 264C008F
	v_lshrrev_b32_e32 v38, 3, v38                              // 000000004FB4: 204C4C83
	v_mul_i32_i24_e32 v38, 0x80, v38                           // 000000004FB8: 0C4C4CFF 00000080
	v_add_u32_e32 v116, v38, v116                              // 000000004FC0: 68E8E926
	s_mul_i32 s60, s7, 16                                      // 000000004FC4: 923C9007
	v_add_u32_e32 v116, s60, v116                              // 000000004FC8: 68E8E83C
	v_add_u32_e32 v117, 1, v116                                // 000000004FCC: 68EAE881
	v_add_u32_e32 v118, 2, v116                                // 000000004FD0: 68ECE882
	v_add_u32_e32 v119, 3, v116                                // 000000004FD4: 68EEE883
	v_cmp_lt_u32_e64 s[40:41], v116, v62                       // 000000004FD8: D0C90028 00027D74
	v_add_u32_e32 v116, 64, v116                               // 000000004FE0: 68E8E8C0
	s_nop 0                                                    // 000000004FE4: BF800000
	v_cndmask_b32_e64 v88, v52, v88, s[40:41]                  // 000000004FE8: D1000058 00A2B134
	v_cmp_lt_u32_e64 s[40:41], v117, v62                       // 000000004FF0: D0C90028 00027D75
	v_add_u32_e32 v117, 64, v117                               // 000000004FF8: 68EAEAC0
	s_nop 0                                                    // 000000004FFC: BF800000
	v_cndmask_b32_e64 v89, v52, v89, s[40:41]                  // 000000005000: D1000059 00A2B334
	v_cmp_lt_u32_e64 s[40:41], v118, v62                       // 000000005008: D0C90028 00027D76
	v_add_u32_e32 v118, 64, v118                               // 000000005010: 68ECECC0
	s_nop 0                                                    // 000000005014: BF800000
	v_cndmask_b32_e64 v90, v52, v90, s[40:41]                  // 000000005018: D100005A 00A2B534
	v_cmp_lt_u32_e64 s[40:41], v119, v62                       // 000000005020: D0C90028 00027D77
	v_add_u32_e32 v119, 64, v119                               // 000000005028: 68EEEEC0
	s_nop 0                                                    // 00000000502C: BF800000
	v_cndmask_b32_e64 v91, v52, v91, s[40:41]                  // 000000005030: D100005B 00A2B734
	v_cmp_lt_u32_e64 s[40:41], v116, v62                       // 000000005038: D0C90028 00027D74
	v_add_u32_e32 v116, 64, v116                               // 000000005040: 68E8E8C0
	s_nop 0                                                    // 000000005044: BF800000
	v_cndmask_b32_e64 v92, v52, v92, s[40:41]                  // 000000005048: D100005C 00A2B934
	v_cmp_lt_u32_e64 s[40:41], v117, v62                       // 000000005050: D0C90028 00027D75
	v_add_u32_e32 v117, 64, v117                               // 000000005058: 68EAEAC0
	s_nop 0                                                    // 00000000505C: BF800000
	v_cndmask_b32_e64 v93, v52, v93, s[40:41]                  // 000000005060: D100005D 00A2BB34
	v_cmp_lt_u32_e64 s[40:41], v118, v62                       // 000000005068: D0C90028 00027D76
	v_add_u32_e32 v118, 64, v118                               // 000000005070: 68ECECC0
	s_nop 0                                                    // 000000005074: BF800000
	v_cndmask_b32_e64 v94, v52, v94, s[40:41]                  // 000000005078: D100005E 00A2BD34
	v_cmp_lt_u32_e64 s[40:41], v119, v62                       // 000000005080: D0C90028 00027D77
	v_add_u32_e32 v119, 64, v119                               // 000000005088: 68EEEEC0
	s_nop 0                                                    // 00000000508C: BF800000
	v_cndmask_b32_e64 v95, v52, v95, s[40:41]                  // 000000005090: D100005F 00A2BF34
	v_mov_b32_e32 v48, v88                                     // 000000005098: 7E600358
	v_max3_f32 v48, v88, v89, v48                              // 00000000509C: D1D30030 04C2B358
	v_max3_f32 v48, v90, v91, v48                              // 0000000050A4: D1D30030 04C2B75A
	v_max3_f32 v48, v92, v93, v48                              // 0000000050AC: D1D30030 04C2BB5C
	v_max3_f32 v48, v94, v95, v48                              // 0000000050B4: D1D30030 04C2BF5E
	ds_write_b32 v11, v48 offset:4224                          // 0000000050BC: D81A1080 0000300B
	v_mul_u32_u24_dpp v38, v16, v51 row_newbcast:1 row_mask:0xf bank_mask:0xf// 0000000050C4: 104C66FA FF015110
	v_mul_u32_u24_dpp v39, v16, v51 row_newbcast:5 row_mask:0xf bank_mask:0xf// 0000000050CC: 104E66FA FF015510
	v_mul_u32_u24_dpp v40, v16, v51 row_newbcast:9 row_mask:0xf bank_mask:0xf// 0000000050D4: 105066FA FF015910
	v_mul_u32_u24_dpp v41, v16, v51 row_newbcast:13 row_mask:0xf bank_mask:0xf// 0000000050DC: 105266FA FF015D10
	v_add_u32_e32 v30, v38, v7                                 // 0000000050E4: 683C0F26
	v_add_u32_e32 v31, v39, v7                                 // 0000000050E8: 683E0F27
	v_add_u32_e32 v32, v40, v7                                 // 0000000050EC: 68400F28
	v_add_u32_e32 v33, v41, v7                                 // 0000000050F0: 68420F29
	s_waitcnt lgkmcnt(0)                                       // 0000000050F4: BF8CC07F
	s_barrier                                                  // 0000000050F8: BF8A0000
	ds_read_b32 v64, v10 offset:4224                           // 0000000050FC: D86C1080 4000000A
	ds_read_b32 v65, v10 offset:4288                           // 000000005104: D86C10C0 4100000A
	ds_read_b32 v66, v10 offset:4352                           // 00000000510C: D86C1100 4200000A
	ds_read_b32 v67, v10 offset:4416                           // 000000005114: D86C1140 4300000A
	ds_read_b32 v68, v10 offset:4480                           // 00000000511C: D86C1180 4400000A
	ds_read_b32 v69, v10 offset:4544                           // 000000005124: D86C11C0 4500000A
	ds_read_b32 v70, v10 offset:4608                           // 00000000512C: D86C1200 4600000A
	ds_read_b32 v71, v10 offset:4672                           // 000000005134: D86C1240 4700000A
	ds_read_b32 v72, v10 offset:4736                           // 00000000513C: D86C1280 4800000A
	ds_read_b32 v73, v10 offset:4800                           // 000000005144: D86C12C0 4900000A
	ds_read_b32 v74, v10 offset:4864                           // 00000000514C: D86C1300 4A00000A
	ds_read_b32 v75, v10 offset:4928                           // 000000005154: D86C1340 4B00000A
	ds_read_b32 v76, v10 offset:4992                           // 00000000515C: D86C1380 4C00000A
	ds_read_b32 v77, v10 offset:5056                           // 000000005164: D86C13C0 4D00000A
	ds_read_b32 v78, v10 offset:5120                           // 00000000516C: D86C1400 4E00000A
	ds_read_b32 v79, v10 offset:5184                           // 000000005174: D86C1440 4F00000A
	v_mul_f32_e32 v112, v49, v112                              // 00000000517C: 0AE0E131
	v_mul_f32_e32 v113, v49, v113                              // 000000005180: 0AE2E331
	v_mul_f32_e32 v114, v49, v114                              // 000000005184: 0AE4E531
	v_mul_f32_e32 v115, v49, v115                              // 000000005188: 0AE6E731
	v_or_b32_dpp v104, v108, v104 row_shr:8 row_mask:0xf bank_mask:0xf bound_ctrl:1// 00000000518C: 28D0D0FA FF09186C
	v_or_b32_dpp v105, v109, v105 row_shr:8 row_mask:0xf bank_mask:0xf bound_ctrl:1// 000000005194: 28D2D2FA FF09186D
	v_or_b32_dpp v106, v110, v106 row_shr:8 row_mask:0xf bank_mask:0xf bound_ctrl:1// 00000000519C: 28D4D4FA FF09186E
	v_or_b32_dpp v107, v111, v107 row_shr:8 row_mask:0xf bank_mask:0xf bound_ctrl:1// 0000000051A4: 28D6D6FA FF09186F
	s_waitcnt lgkmcnt(0)                                       // 0000000051AC: BF8CC07F
	v_max3_f32 v48, v64, v65, v48                              // 0000000051B0: D1D30030 04C28340
	v_max3_f32 v48, v66, v67, v48                              // 0000000051B8: D1D30030 04C28742
	v_max3_f32 v48, v68, v69, v48                              // 0000000051C0: D1D30030 04C28B44
	v_max3_f32 v48, v70, v71, v48                              // 0000000051C8: D1D30030 04C28F46
	v_max3_f32 v48, v72, v73, v48                              // 0000000051D0: D1D30030 04C29348
	v_max3_f32 v48, v74, v75, v48                              // 0000000051D8: D1D30030 04C2974A
	v_max3_f32 v48, v76, v77, v48                              // 0000000051E0: D1D30030 04C29B4C
	v_max3_f32 v48, v78, v79, v48                              // 0000000051E8: D1D30030 04C29F4E
	v_cmp_eq_u32_e64 s[40:41], v52, v14                        // 0000000051F0: D0CA0028 00021D34
	s_nop 1                                                    // 0000000051F8: BF800001
	v_mov_b32_dpp v38, v48 row_ror:8 row_mask:0xf bank_mask:0xf// 0000000051FC: 7E4C02FA FF012830
	v_max_f32_e32 v48, v48, v38                                // 000000005204: 16604D30
	v_max_f32_e32 v15, v48, v14                                // 000000005208: 161E1D30
	v_mul_f32_e32 v50, s64, v15                                // 00000000520C: 0A641E40
	v_fma_f32 v88, v88, s64, -v50                              // 000000005210: D1CB0058 84C88158
	v_fma_f32 v89, v89, s64, -v50                              // 000000005218: D1CB0059 84C88159
	v_fma_f32 v90, v90, s64, -v50                              // 000000005220: D1CB005A 84C8815A
	v_fma_f32 v91, v91, s64, -v50                              // 000000005228: D1CB005B 84C8815B
	v_fma_f32 v92, v92, s64, -v50                              // 000000005230: D1CB005C 84C8815C
	v_fma_f32 v93, v93, s64, -v50                              // 000000005238: D1CB005D 84C8815D
	v_fma_f32 v94, v94, s64, -v50                              // 000000005240: D1CB005E 84C8815E
	v_fma_f32 v95, v95, s64, -v50                              // 000000005248: D1CB005F 84C8815F
	v_exp_f32_e32 v88, v88                                     // 000000005250: 7EB04158
	v_exp_f32_e32 v89, v89                                     // 000000005254: 7EB24159
	v_exp_f32_e32 v90, v90                                     // 000000005258: 7EB4415A
	v_exp_f32_e32 v91, v91                                     // 00000000525C: 7EB6415B
	v_exp_f32_e32 v92, v92                                     // 000000005260: 7EB8415C
	v_exp_f32_e32 v93, v93                                     // 000000005264: 7EBA415D
	v_exp_f32_e32 v94, v94                                     // 000000005268: 7EBC415E
	v_exp_f32_e32 v95, v95                                     // 00000000526C: 7EBE415F
	v_mul_f32_dpp v116, v126, v88 quad_perm:[0,0,0,0] row_mask:0xf bank_mask:0xf// 000000005270: 0AE8B0FA FF00007E
	v_mul_f32_dpp v117, v126, v89 quad_perm:[1,1,1,1] row_mask:0xf bank_mask:0xf// 000000005278: 0AEAB2FA FF00557E
	v_mul_f32_dpp v118, v126, v90 quad_perm:[2,2,2,2] row_mask:0xf bank_mask:0xf// 000000005280: 0AECB4FA FF00AA7E
	v_mul_f32_dpp v119, v126, v91 quad_perm:[3,3,3,3] row_mask:0xf bank_mask:0xf// 000000005288: 0AEEB6FA FF00FF7E
	v_mul_f32_dpp v120, v127, v92 quad_perm:[0,0,0,0] row_mask:0xf bank_mask:0xf// 000000005290: 0AF0B8FA FF00007F
	v_mul_f32_dpp v121, v127, v93 quad_perm:[1,1,1,1] row_mask:0xf bank_mask:0xf// 000000005298: 0AF2BAFA FF00557F
	v_mul_f32_dpp v122, v127, v94 quad_perm:[2,2,2,2] row_mask:0xf bank_mask:0xf// 0000000052A0: 0AF4BCFA FF00AA7F
	v_mul_f32_dpp v123, v127, v95 quad_perm:[3,3,3,3] row_mask:0xf bank_mask:0xf// 0000000052A8: 0AF6BEFA FF00FF7F
	v_mov_b32_e32 v48, 0x358637bd                              // 0000000052B0: 7E6002FF 358637BD
	v_max3_f32 v48, |v116|, |v117|, v48                        // 0000000052B8: D1D30330 04C2EB74
	v_max3_f32 v48, |v118|, |v119|, v48                        // 0000000052C0: D1D30330 04C2EF76
	v_max3_f32 v48, |v120|, |v121|, v48                        // 0000000052C8: D1D30330 04C2F378
	v_max3_f32 v48, |v122|, |v123|, v48                        // 0000000052D0: D1D30330 04C2F77A
	ds_write_b32 v11, v48 offset:5248                          // 0000000052D8: D81A1480 0000300B
	v_sub_f32_e32 v49, v14, v15                                // 0000000052E0: 04621F0E
	v_cndmask_b32_e64 v49, v49, 0, s[40:41]                    // 0000000052E4: D1000031 00A10131
	v_mov_b32_e32 v14, v15                                     // 0000000052EC: 7E1C030F
	v_mul_f32_e32 v49, s64, v49                                // 0000000052F0: 0A626240
	v_exp_f32_e32 v49, v49                                     // 0000000052F4: 7E624131
	s_waitcnt lgkmcnt(0)                                       // 0000000052F8: BF8CC07F
	s_barrier                                                  // 0000000052FC: BF8A0000
	ds_read_b32 v64, v10 offset:5248                           // 000000005300: D86C1480 4000000A
	ds_read_b32 v65, v10 offset:5312                           // 000000005308: D86C14C0 4100000A
	ds_read_b32 v66, v10 offset:5376                           // 000000005310: D86C1500 4200000A
	ds_read_b32 v67, v10 offset:5440                           // 000000005318: D86C1540 4300000A
	ds_read_b32 v68, v10 offset:5504                           // 000000005320: D86C1580 4400000A
	ds_read_b32 v69, v10 offset:5568                           // 000000005328: D86C15C0 4500000A
	ds_read_b32 v70, v10 offset:5632                           // 000000005330: D86C1600 4600000A
	ds_read_b32 v71, v10 offset:5696                           // 000000005338: D86C1640 4700000A
	ds_read_b32 v72, v10 offset:5760                           // 000000005340: D86C1680 4800000A
	ds_read_b32 v73, v10 offset:5824                           // 000000005348: D86C16C0 4900000A
	ds_read_b32 v74, v10 offset:5888                           // 000000005350: D86C1700 4A00000A
	ds_read_b32 v75, v10 offset:5952                           // 000000005358: D86C1740 4B00000A
	ds_read_b32 v76, v10 offset:6016                           // 000000005360: D86C1780 4C00000A
	ds_read_b32 v77, v10 offset:6080                           // 000000005368: D86C17C0 4D00000A
	ds_read_b32 v78, v10 offset:6144                           // 000000005370: D86C1800 4E00000A
	ds_read_b32 v79, v10 offset:6208                           // 000000005378: D86C1840 4F00000A
	v_mul_f32_e32 v42, v49, v42                                // 000000005380: 0A545531
	v_mov_b32_e32 v43, v88                                     // 000000005384: 7E560358
	v_add_f32_e32 v43, v89, v43                                // 000000005388: 02565759
	v_add_f32_e32 v43, v90, v43                                // 00000000538C: 0256575A
	v_add_f32_e32 v43, v91, v43                                // 000000005390: 0256575B
	v_add_f32_e32 v43, v92, v43                                // 000000005394: 0256575C
	v_add_f32_e32 v43, v93, v43                                // 000000005398: 0256575D
	v_add_f32_e32 v43, v94, v43                                // 00000000539C: 0256575E
	v_add_f32_e32 v43, v95, v43                                // 0000000053A0: 0256575F
	v_add_f32_e32 v42, v43, v42                                // 0000000053A4: 0254552B
	s_waitcnt lgkmcnt(0)                                       // 0000000053A8: BF8CC07F
	v_max3_f32 v48, |v64|, |v65|, v48                          // 0000000053AC: D1D30330 04C28340
	v_max3_f32 v48, |v66|, |v67|, v48                          // 0000000053B4: D1D30330 04C28742
	v_max3_f32 v48, |v68|, |v69|, v48                          // 0000000053BC: D1D30330 04C28B44
	v_max3_f32 v48, |v70|, |v71|, v48                          // 0000000053C4: D1D30330 04C28F46
	v_max3_f32 v48, |v72|, |v73|, v48                          // 0000000053CC: D1D30330 04C29348
	v_max3_f32 v48, |v74|, |v75|, v48                          // 0000000053D4: D1D30330 04C2974A
	v_max3_f32 v48, |v76|, |v77|, v48                          // 0000000053DC: D1D30330 04C29B4C
	v_max3_f32 v48, |v78|, |v79|, v48                          // 0000000053E4: D1D30330 04C29F4E
	s_nop 2                                                    // 0000000053EC: BF800002
	v_mov_b32_dpp v38, v48 row_ror:8 row_mask:0xf bank_mask:0xf// 0000000053F0: 7E4C02FA FF012830
	v_max_f32_e32 v48, v48, v38                                // 0000000053F8: 16604D30
	v_rcp_f32_e32 v48, v48                                     // 0000000053FC: 7E604530
	s_nop 1                                                    // 000000005400: BF800001
	v_mul_f32_e32 v48, 0x43700000, v48                         // 000000005404: 0A6060FF 43700000
	v_mul_f32_e32 v88, v48, v116                               // 00000000540C: 0AB0E930
	v_mul_f32_e32 v89, v48, v117                               // 000000005410: 0AB2EB30
	v_mul_f32_e32 v90, v48, v118                               // 000000005414: 0AB4ED30
	v_mul_f32_e32 v91, v48, v119                               // 000000005418: 0AB6EF30
	v_mul_f32_e32 v92, v48, v120                               // 00000000541C: 0AB8F130
	v_mul_f32_e32 v93, v48, v121                               // 000000005420: 0ABAF330
	v_mul_f32_e32 v94, v48, v122                               // 000000005424: 0ABCF530
	v_mul_f32_e32 v95, v48, v123                               // 000000005428: 0ABEF730
	v_cvt_pk_fp8_f32 v88, v88, v89                             // 00000000542C: D2A20058 0002B358
	v_cvt_pk_fp8_f32 v88, v90, v91 op_sel:[0,0,1]              // 000000005434: D2A24058 0002B75A
	v_cvt_pk_fp8_f32 v89, v92, v93                             // 00000000543C: D2A20059 0002BB5C
	v_cvt_pk_fp8_f32 v89, v94, v95 op_sel:[0,0,1]              // 000000005444: D2A24059 0002BF5E
	ds_write_b32 v13, v88 offset:6272                          // 00000000544C: D81A1880 0000580D
	ds_write_b32 v13, v89 offset:7296                          // 000000005454: D81A1C80 0000590D
	v_mul_f32_e32 v104, v47, v104                              // 00000000545C: 0AD0D12F
	v_mul_f32_e32 v105, v47, v105                              // 000000005460: 0AD2D32F
	v_mul_f32_e32 v106, v47, v106                              // 000000005464: 0AD4D52F
	v_mul_f32_e32 v107, v47, v107                              // 000000005468: 0AD6D72F
	v_rcp_f32_e32 v47, v48                                     // 00000000546C: 7E5E4530
	s_waitcnt lgkmcnt(0)                                       // 000000005470: BF8CC07F
	s_barrier                                                  // 000000005474: BF8A0000
	ds_read_b64 v[88:89], v12 offset:6272                      // 000000005478: D8EC1880 5800000C
	ds_read_b64 v[90:91], v12 offset:6400                      // 000000005480: D8EC1900 5A00000C
	ds_read_b64 v[92:93], v12 offset:7296                      // 000000005488: D8EC1C80 5C00000C
	ds_read_b64 v[94:95], v12 offset:7424                      // 000000005490: D8EC1D00 5E00000C
	v_add_f32_e32 v112, v112, v104                             // 000000005498: 02E0D170
	v_add_f32_e32 v113, v113, v105                             // 00000000549C: 02E2D371
	v_add_f32_e32 v114, v114, v106                             // 0000000054A0: 02E4D572
	v_add_f32_e32 v115, v115, v107                             // 0000000054A4: 02E6D773
	s_waitcnt lgkmcnt(3)                                       // 0000000054A8: BF8CC37F
	v_mov_b32_dpp v96, v88 row_shl:8 row_mask:0xf bank_mask:0xf bound_ctrl:1// 0000000054AC: 7EC002FA FF090858
	v_and_b32_e32 v88, v88, v9                                 // 0000000054B4: 26B01358
	v_mov_b32_dpp v97, v89 row_shl:8 row_mask:0xf bank_mask:0xf bound_ctrl:1// 0000000054B8: 7EC202FA FF090859
	v_and_b32_e32 v89, v89, v9                                 // 0000000054C0: 26B21359
	s_waitcnt lgkmcnt(2)                                       // 0000000054C4: BF8CC27F
	v_mov_b32_dpp v98, v90 row_shl:8 row_mask:0xf bank_mask:0xf bound_ctrl:1// 0000000054C8: 7EC402FA FF09085A
	v_and_b32_e32 v90, v90, v9                                 // 0000000054D0: 26B4135A
	v_mov_b32_dpp v99, v91 row_shl:8 row_mask:0xf bank_mask:0xf bound_ctrl:1// 0000000054D4: 7EC602FA FF09085B
	v_and_b32_e32 v91, v91, v9                                 // 0000000054DC: 26B6135B
	s_waitcnt lgkmcnt(1)                                       // 0000000054E0: BF8CC17F
	v_mov_b32_dpp v100, v92 row_shl:8 row_mask:0xf bank_mask:0xf bound_ctrl:1// 0000000054E4: 7EC802FA FF09085C
	v_and_b32_e32 v92, v92, v9                                 // 0000000054EC: 26B8135C
	v_mov_b32_dpp v101, v93 row_shl:8 row_mask:0xf bank_mask:0xf bound_ctrl:1// 0000000054F0: 7ECA02FA FF09085D
	v_and_b32_e32 v93, v93, v9                                 // 0000000054F8: 26BA135D
	s_waitcnt lgkmcnt(0)                                       // 0000000054FC: BF8CC07F
	v_mov_b32_dpp v102, v94 row_shl:8 row_mask:0xf bank_mask:0xf bound_ctrl:1// 000000005500: 7ECC02FA FF09085E
	v_and_b32_e32 v94, v94, v9                                 // 000000005508: 26BC135E
	v_mov_b32_dpp v103, v95 row_shl:8 row_mask:0xf bank_mask:0xf bound_ctrl:1// 00000000550C: 7ECE02FA FF09085F
	v_and_b32_e32 v95, v95, v9                                 // 000000005514: 26BE135F
	s_waitcnt vmcnt(0)                                         // 000000005518: BF8C0F70
	s_barrier                                                  // 00000000551C: BF8A0000
	v_mfma_f32_16x16x32_fp8_fp8 v[104:107], a[96:97], v[88:89], 0// 000000005520: D3F30068 0A02B160
	v_mfma_f32_16x16x32_fp8_fp8 v[104:107], a[98:99], v[90:91], v[104:107]// 000000005528: D3F30068 0DA2B562
	v_mfma_f32_16x16x32_fp8_fp8 v[104:107], a[100:101], v[92:93], v[104:107]// 000000005530: D3F30068 0DA2B964
	v_mfma_f32_16x16x32_fp8_fp8 v[104:107], a[102:103], v[94:95], v[104:107]// 000000005538: D3F30068 0DA2BD66
	v_mfma_f32_16x16x32_fp8_fp8 v[104:107], a[104:105], v[96:97], v[104:107]// 000000005540: D3F30068 0DA2C168
	v_mfma_f32_16x16x32_fp8_fp8 v[104:107], a[106:107], v[98:99], v[104:107]// 000000005548: D3F30068 0DA2C56A
	v_mfma_f32_16x16x32_fp8_fp8 v[104:107], a[108:109], v[100:101], v[104:107]// 000000005550: D3F30068 0DA2C96C
	v_mfma_f32_16x16x32_fp8_fp8 v[104:107], a[110:111], v[102:103], v[104:107]// 000000005558: D3F30068 0DA2CD6E
	v_mfma_f32_16x16x32_fp8_fp8 v[108:111], a[112:113], v[88:89], 0// 000000005560: D3F3006C 0A02B170
	v_mfma_f32_16x16x32_fp8_fp8 v[108:111], a[114:115], v[90:91], v[108:111]// 000000005568: D3F3006C 0DB2B572
	v_mfma_f32_16x16x32_fp8_fp8 v[108:111], a[116:117], v[92:93], v[108:111]// 000000005570: D3F3006C 0DB2B974
	v_mfma_f32_16x16x32_fp8_fp8 v[108:111], a[118:119], v[94:95], v[108:111]// 000000005578: D3F3006C 0DB2BD76
	v_mfma_f32_16x16x32_fp8_fp8 v[108:111], a[120:121], v[96:97], v[108:111]// 000000005580: D3F3006C 0DB2C178
	v_mfma_f32_16x16x32_fp8_fp8 v[108:111], a[122:123], v[98:99], v[108:111]// 000000005588: D3F3006C 0DB2C57A
	v_mfma_f32_16x16x32_fp8_fp8 v[108:111], a[124:125], v[100:101], v[108:111]// 000000005590: D3F3006C 0DB2C97C
	v_mfma_f32_16x16x32_fp8_fp8 v[108:111], a[126:127], v[102:103], v[108:111]// 000000005598: D3F3006C 0DB2CD7E
	s_nop 4                                                    // 0000000055A0: BF800004
	s_branch label_0D2A                                        // 0000000055A4: BF820000

00000000000055a8 <label_0D2A>:
	v_mul_f32_e32 v112, v49, v112                              // 0000000055A8: 0AE0E131
	v_mul_f32_e32 v113, v49, v113                              // 0000000055AC: 0AE2E331
	v_mul_f32_e32 v114, v49, v114                              // 0000000055B0: 0AE4E531
	v_mul_f32_e32 v115, v49, v115                              // 0000000055B4: 0AE6E731
	v_or_b32_dpp v104, v108, v104 row_shr:8 row_mask:0xf bank_mask:0xf bound_ctrl:1// 0000000055B8: 28D0D0FA FF09186C
	v_or_b32_dpp v105, v109, v105 row_shr:8 row_mask:0xf bank_mask:0xf bound_ctrl:1// 0000000055C0: 28D2D2FA FF09186D
	v_or_b32_dpp v106, v110, v106 row_shr:8 row_mask:0xf bank_mask:0xf bound_ctrl:1// 0000000055C8: 28D4D4FA FF09186E
	v_or_b32_dpp v107, v111, v107 row_shr:8 row_mask:0xf bank_mask:0xf bound_ctrl:1// 0000000055D0: 28D6D6FA FF09186F
	v_mul_f32_e32 v104, v47, v104                              // 0000000055D8: 0AD0D12F
	v_mul_f32_e32 v105, v47, v105                              // 0000000055DC: 0AD2D32F
	v_mul_f32_e32 v106, v47, v106                              // 0000000055E0: 0AD4D52F
	v_mul_f32_e32 v107, v47, v107                              // 0000000055E4: 0AD6D72F
	v_add_f32_e32 v112, v112, v104                             // 0000000055E8: 02E0D170
	v_add_f32_e32 v113, v113, v105                             // 0000000055EC: 02E2D371
	v_add_f32_e32 v114, v114, v106                             // 0000000055F0: 02E4D572
	v_add_f32_e32 v115, v115, v107                             // 0000000055F4: 02E6D773
	ds_write_b32 v11, v42 offset:4224                          // 0000000055F8: D81A1080 00002A0B
	s_waitcnt lgkmcnt(0)                                       // 000000005600: BF8CC07F
	s_barrier                                                  // 000000005604: BF8A0000
	ds_read_b32 v64, v10 offset:4224                           // 000000005608: D86C1080 4000000A
	ds_read_b32 v65, v10 offset:4288                           // 000000005610: D86C10C0 4100000A
	ds_read_b32 v66, v10 offset:4352                           // 000000005618: D86C1100 4200000A
	ds_read_b32 v67, v10 offset:4416                           // 000000005620: D86C1140 4300000A
	ds_read_b32 v68, v10 offset:4480                           // 000000005628: D86C1180 4400000A
	ds_read_b32 v69, v10 offset:4544                           // 000000005630: D86C11C0 4500000A
	ds_read_b32 v70, v10 offset:4608                           // 000000005638: D86C1200 4600000A
	ds_read_b32 v71, v10 offset:4672                           // 000000005640: D86C1240 4700000A
	ds_read_b32 v72, v10 offset:4736                           // 000000005648: D86C1280 4800000A
	ds_read_b32 v73, v10 offset:4800                           // 000000005650: D86C12C0 4900000A
	ds_read_b32 v74, v10 offset:4864                           // 000000005658: D86C1300 4A00000A
	ds_read_b32 v75, v10 offset:4928                           // 000000005660: D86C1340 4B00000A
	ds_read_b32 v76, v10 offset:4992                           // 000000005668: D86C1380 4C00000A
	ds_read_b32 v77, v10 offset:5056                           // 000000005670: D86C13C0 4D00000A
	ds_read_b32 v78, v10 offset:5120                           // 000000005678: D86C1400 4E00000A
	ds_read_b32 v79, v10 offset:5184                           // 000000005680: D86C1440 4F00000A
	s_waitcnt lgkmcnt(0)                                       // 000000005688: BF8CC07F
	v_mov_b32_e32 v42, 0                                       // 00000000568C: 7E540280
	v_add_f32_e32 v42, v64, v42                                // 000000005690: 02545540
	v_add_f32_e32 v42, v65, v42                                // 000000005694: 02545541
	;; [unrolled: 1-line block ×3, first 2 shown]
	v_add_f32_e32 v42, v67, v42                                // 00000000569C: 02545543
	v_add_f32_e32 v42, v68, v42                                // 0000000056A0: 02545544
	v_add_f32_e32 v42, v69, v42                                // 0000000056A4: 02545545
	v_add_f32_e32 v42, v70, v42                                // 0000000056A8: 02545546
	v_add_f32_e32 v42, v71, v42                                // 0000000056AC: 02545547
	v_add_f32_e32 v42, v72, v42                                // 0000000056B0: 02545548
	v_add_f32_e32 v42, v73, v42                                // 0000000056B4: 02545549
	v_add_f32_e32 v42, v74, v42                                // 0000000056B8: 0254554A
	v_add_f32_e32 v42, v75, v42                                // 0000000056BC: 0254554B
	v_add_f32_e32 v42, v76, v42                                // 0000000056C0: 0254554C
	v_add_f32_e32 v42, v77, v42                                // 0000000056C4: 0254554D
	v_add_f32_e32 v42, v78, v42                                // 0000000056C8: 0254554E
	v_add_f32_e32 v42, v79, v42                                // 0000000056CC: 0254554F
	s_nop 1                                                    // 0000000056D0: BF800001
	v_mov_b32_dpp v38, v42 row_ror:8 row_mask:0xf bank_mask:0xf// 0000000056D4: 7E4C02FA FF01282A
	v_add_f32_e32 v42, v42, v38                                // 0000000056DC: 02544D2A
	v_rcp_f32_e32 v42, v42                                     // 0000000056E0: 7E54452A
	s_nop 1                                                    // 0000000056E4: BF800001
	v_mul_f32_e32 v112, v42, v112                              // 0000000056E8: 0AE0E12A
	v_mul_f32_e32 v113, v42, v113                              // 0000000056EC: 0AE2E32A
	v_mul_f32_e32 v114, v42, v114                              // 0000000056F0: 0AE4E52A
	v_mul_f32_e32 v115, v42, v115                              // 0000000056F4: 0AE6E72A
	v_cvt_pkrtz_f16_f32 v38, v112, v113                        // 0000000056F8: D2960026 0002E370
	v_mov_b32_e32 v112, v38                                    // 000000005700: 7EE00326
	v_cvt_pkrtz_f16_f32 v38, v114, v115                        // 000000005704: D2960026 0002E772
	v_mov_b32_e32 v113, v38                                    // 00000000570C: 7EE20326
	s_nop 1                                                    // 000000005710: BF800001
	v_mov_b32_dpp v114, v112 row_shl:8 row_mask:0xf bank_mask:0xf bound_ctrl:1// 000000005714: 7EE402FA FF090870
	v_and_b32_e32 v112, v112, v9                               // 00000000571C: 26E01370
	v_mov_b32_dpp v115, v113 row_shl:8 row_mask:0xf bank_mask:0xf bound_ctrl:1// 000000005720: 7EE602FA FF090871
	v_and_b32_e32 v113, v113, v9                               // 000000005728: 26E21371
	v_lshrrev_b32_e32 v38, 4, v0                               // 00000000572C: 204C0084
	v_mul_i32_i24_e32 v5, 34, v38                              // 000000005730: 0C0A4CA2
	v_and_b32_e32 v38, 15, v0                                  // 000000005734: 264C008F
	v_mul_i32_i24_e32 v39, 2, v38                              // 000000005738: 0C4E4C82
	v_add_u32_e32 v5, v39, v5                                  // 00000000573C: 680A0B27
	s_mul_i32 s60, s7, 0x88                                    // 000000005740: 923CFF07 00000088
	v_add_u32_e32 v5, s60, v5                                  // 000000005748: 680A0A3C
	v_lshlrev_b32_e32 v5, 2, v5                                // 00000000574C: 240A0A82
	ds_write_b64 v5, v[112:113] offset:10368                   // 000000005750: D89A2880 00007005
	ds_write_b64 v5, v[114:115] offset:12544                   // 000000005758: D89A3100 00007205
	v_lshrrev_b32_e32 v38, 1, v0                               // 000000005760: 204C0081
	v_mul_i32_i24_e32 v5, 34, v38                              // 000000005764: 0C0A4CA2
	v_and_b32_e32 v39, 1, v0                                   // 000000005768: 264E0081
	v_add_u32_e32 v5, v39, v5                                  // 00000000576C: 680A0B27
	s_mul_i32 s60, s7, 2                                       // 000000005770: 923C8207
	v_add_u32_e32 v5, s60, v5                                  // 000000005774: 680A0A3C
	v_lshlrev_b32_e32 v5, 2, v5                                // 000000005778: 240A0A82
	s_waitcnt lgkmcnt(0)                                       // 00000000577C: BF8CC07F
	s_barrier                                                  // 000000005780: BF8A0000
	ds_read_b32 v112, v5 offset:10368                          // 000000005784: D86C2880 70000005
	ds_read_b32 v113, v5 offset:10400                          // 00000000578C: D86C28A0 71000005
	s_waitcnt lgkmcnt(0)                                       // 000000005794: BF8CC07F
	buffer_store_dword v112, v8, s[8:11], 0 offen              // 000000005798: E0701000 80027008
	buffer_store_dword v113, v8, s[8:11], 0 offen offset:1024  // 0000000057A0: E0701400 80027108
	s_waitcnt vmcnt(0) expcnt(0) lgkmcnt(0)                    // 0000000057A8: BF8C0000
	s_endpgm                                                   // 0000000057AC: BF810000
